;; amdgpu-corpus repo=ROCm/rocFFT kind=compiled arch=gfx1030 opt=O3
	.text
	.amdgcn_target "amdgcn-amd-amdhsa--gfx1030"
	.amdhsa_code_object_version 6
	.protected	bluestein_single_fwd_len528_dim1_dp_op_CI_CI ; -- Begin function bluestein_single_fwd_len528_dim1_dp_op_CI_CI
	.globl	bluestein_single_fwd_len528_dim1_dp_op_CI_CI
	.p2align	8
	.type	bluestein_single_fwd_len528_dim1_dp_op_CI_CI,@function
bluestein_single_fwd_len528_dim1_dp_op_CI_CI: ; @bluestein_single_fwd_len528_dim1_dp_op_CI_CI
; %bb.0:
	s_load_dwordx4 s[8:11], s[4:5], 0x28
	v_mul_u32_u24_e32 v1, 0x556, v0
	v_mov_b32_e32 v147, 0
	s_mov_b32 s0, exec_lo
	v_lshrrev_b32_e32 v1, 16, v1
	v_add_nc_u32_e32 v146, s6, v1
	s_waitcnt lgkmcnt(0)
	v_cmpx_gt_u64_e64 s[8:9], v[146:147]
	s_cbranch_execz .LBB0_31
; %bb.1:
	s_clause 0x1
	s_load_dwordx4 s[0:3], s[4:5], 0x18
	s_load_dwordx2 s[6:7], s[4:5], 0x0
	v_mul_lo_u16 v1, v1, 48
	v_sub_nc_u16 v98, v0, v1
	v_and_b32_e32 v150, 0xffff, v98
	v_lshlrev_b32_e32 v149, 4, v150
	s_waitcnt lgkmcnt(0)
	s_load_dwordx4 s[12:15], s[0:1], 0x0
	s_clause 0x1
	global_load_dwordx4 v[0:3], v149, s[6:7]
	global_load_dwordx4 v[4:7], v149, s[6:7] offset:768
	v_add_co_u32 v140, s0, s6, v149
	v_add_co_ci_u32_e64 v141, null, s7, 0, s0
	v_add_co_u32 v144, vcc_lo, 0x1000, v140
	v_add_co_ci_u32_e32 v145, vcc_lo, 0, v141, vcc_lo
	v_add_co_u32 v142, vcc_lo, 0x1800, v140
	v_add_co_ci_u32_e32 v143, vcc_lo, 0, v141, vcc_lo
	;; [unrolled: 2-line block ×3, first 2 shown]
	s_waitcnt lgkmcnt(0)
	v_mad_u64_u32 v[24:25], null, s14, v146, 0
	v_mad_u64_u32 v[26:27], null, s12, v150, 0
	s_mul_i32 s1, s13, 0x84
	s_mul_hi_u32 s7, s12, 0x84
	s_mul_i32 s0, s12, 0x84
	s_add_i32 s1, s7, s1
	v_mov_b32_e32 v8, v25
	s_mul_hi_u32 s9, s12, 0xfffffea4
	v_mov_b32_e32 v9, v27
	s_mul_i32 s8, s13, 0xfffffea4
	s_mul_i32 s6, s12, 0xfffffea4
	global_load_dwordx4 v[16:19], v[144:145], off offset:128
	v_mad_u64_u32 v[27:28], null, s15, v146, v[8:9]
	v_mad_u64_u32 v[28:29], null, s13, v150, v[9:10]
	s_lshl_b64 s[14:15], s[0:1], 4
	s_sub_i32 s0, s9, s12
	s_clause 0x2
	global_load_dwordx4 v[8:11], v[142:143], off offset:192
	global_load_dwordx4 v[20:23], v[147:148], off offset:64
	;; [unrolled: 1-line block ×3, first 2 shown]
	s_add_i32 s7, s0, s8
	v_mov_b32_e32 v25, v27
	s_lshl_b64 s[0:1], s[6:7], 4
	v_mov_b32_e32 v27, v28
	v_lshlrev_b64 v[24:25], 4, v[24:25]
	v_lshlrev_b64 v[26:27], 4, v[26:27]
	v_add_co_u32 v24, vcc_lo, s10, v24
	v_add_co_ci_u32_e32 v25, vcc_lo, s11, v25, vcc_lo
	v_add_co_u32 v24, vcc_lo, v24, v26
	v_add_co_ci_u32_e32 v25, vcc_lo, v25, v27, vcc_lo
	;; [unrolled: 2-line block ×3, first 2 shown]
	s_clause 0x1
	global_load_dwordx4 v[34:37], v[24:25], off
	global_load_dwordx4 v[38:41], v[26:27], off
	v_add_co_u32 v28, vcc_lo, v26, s14
	v_add_co_ci_u32_e32 v29, vcc_lo, s15, v27, vcc_lo
	v_add_co_u32 v30, vcc_lo, v28, s14
	v_add_co_ci_u32_e32 v31, vcc_lo, s15, v29, vcc_lo
	s_clause 0x1
	global_load_dwordx4 v[42:45], v[28:29], off
	global_load_dwordx4 v[46:49], v[30:31], off
	v_add_co_u32 v32, vcc_lo, v30, s0
	v_add_co_ci_u32_e32 v33, vcc_lo, s1, v31, vcc_lo
	v_add_co_u32 v24, vcc_lo, v32, s14
	v_add_co_ci_u32_e32 v25, vcc_lo, s15, v33, vcc_lo
	global_load_dwordx4 v[50:53], v[32:33], off
	v_add_co_u32 v28, vcc_lo, v24, s14
	v_add_co_ci_u32_e32 v29, vcc_lo, s15, v25, vcc_lo
	v_add_co_u32 v32, vcc_lo, v28, s14
	v_add_co_ci_u32_e32 v33, vcc_lo, s15, v29, vcc_lo
	global_load_dwordx4 v[54:57], v[24:25], off
	global_load_dwordx4 v[24:27], v[144:145], off offset:896
	global_load_dwordx4 v[58:61], v[28:29], off
	global_load_dwordx4 v[28:31], v[142:143], off offset:960
	global_load_dwordx4 v[62:65], v[32:33], off
	s_load_dwordx2 s[6:7], s[4:5], 0x38
	s_load_dwordx4 s[8:11], s[2:3], 0x0
	v_cmp_gt_u16_e32 vcc_lo, 36, v98
	s_waitcnt vmcnt(9)
	v_mul_f64 v[66:67], v[36:37], v[2:3]
	v_mul_f64 v[68:69], v[34:35], v[2:3]
	s_waitcnt vmcnt(8)
	v_mul_f64 v[70:71], v[40:41], v[22:23]
	v_mul_f64 v[72:73], v[38:39], v[22:23]
	;; [unrolled: 3-line block ×4, first 2 shown]
	v_fma_f64 v[34:35], v[34:35], v[0:1], v[66:67]
	s_waitcnt vmcnt(5)
	v_mul_f64 v[82:83], v[52:53], v[6:7]
	v_mul_f64 v[84:85], v[50:51], v[6:7]
	v_fma_f64 v[36:37], v[36:37], v[0:1], -v[68:69]
	v_fma_f64 v[38:39], v[38:39], v[20:21], v[70:71]
	v_fma_f64 v[40:41], v[40:41], v[20:21], -v[72:73]
	s_waitcnt vmcnt(4)
	v_mul_f64 v[86:87], v[56:57], v[14:15]
	v_mul_f64 v[88:89], v[54:55], v[14:15]
	s_waitcnt vmcnt(2)
	v_mul_f64 v[90:91], v[60:61], v[26:27]
	v_mul_f64 v[92:93], v[58:59], v[26:27]
	;; [unrolled: 3-line block ×3, first 2 shown]
	v_fma_f64 v[42:43], v[42:43], v[16:17], v[74:75]
	v_fma_f64 v[44:45], v[44:45], v[16:17], -v[76:77]
	v_fma_f64 v[46:47], v[46:47], v[8:9], v[78:79]
	v_fma_f64 v[48:49], v[48:49], v[8:9], -v[80:81]
	ds_write_b128 v149, v[34:37]
	ds_write_b128 v149, v[38:41] offset:2112
	ds_write_b128 v149, v[42:45] offset:4224
	;; [unrolled: 1-line block ×3, first 2 shown]
	v_fma_f64 v[50:51], v[50:51], v[4:5], v[82:83]
	v_fma_f64 v[52:53], v[52:53], v[4:5], -v[84:85]
	v_fma_f64 v[54:55], v[54:55], v[12:13], v[86:87]
	v_fma_f64 v[56:57], v[56:57], v[12:13], -v[88:89]
	;; [unrolled: 2-line block ×4, first 2 shown]
	ds_write_b128 v149, v[50:53] offset:768
	ds_write_b128 v149, v[54:57] offset:2880
	;; [unrolled: 1-line block ×4, first 2 shown]
	s_and_saveexec_b32 s2, vcc_lo
	s_cbranch_execz .LBB0_3
; %bb.2:
	v_add_co_u32 v36, s0, v32, s0
	v_add_co_ci_u32_e64 v37, s0, s1, v33, s0
	v_add_co_u32 v40, s0, v36, s14
	v_add_co_ci_u32_e64 v41, s0, s15, v37, s0
	global_load_dwordx4 v[32:35], v[36:37], off
	v_add_co_u32 v48, s0, v40, s14
	v_add_co_ci_u32_e64 v49, s0, s15, v41, s0
	global_load_dwordx4 v[36:39], v[140:141], off offset:1536
	v_add_co_u32 v60, s0, v48, s14
	global_load_dwordx4 v[40:43], v[40:41], off
	v_add_co_ci_u32_e64 v61, s0, s15, v49, s0
	global_load_dwordx4 v[44:47], v[147:148], off offset:1600
	global_load_dwordx4 v[48:51], v[48:49], off
	s_clause 0x1
	global_load_dwordx4 v[52:55], v[144:145], off offset:1664
	global_load_dwordx4 v[56:59], v[142:143], off offset:1728
	global_load_dwordx4 v[60:63], v[60:61], off
	s_waitcnt vmcnt(6)
	v_mul_f64 v[64:65], v[34:35], v[38:39]
	v_mul_f64 v[38:39], v[32:33], v[38:39]
	s_waitcnt vmcnt(4)
	v_mul_f64 v[66:67], v[42:43], v[46:47]
	v_mul_f64 v[46:47], v[40:41], v[46:47]
	;; [unrolled: 3-line block ×4, first 2 shown]
	v_fma_f64 v[32:33], v[32:33], v[36:37], v[64:65]
	v_fma_f64 v[34:35], v[34:35], v[36:37], -v[38:39]
	v_fma_f64 v[36:37], v[40:41], v[44:45], v[66:67]
	v_fma_f64 v[38:39], v[42:43], v[44:45], -v[46:47]
	;; [unrolled: 2-line block ×4, first 2 shown]
	ds_write_b128 v149, v[32:35] offset:1536
	ds_write_b128 v149, v[36:39] offset:3648
	;; [unrolled: 1-line block ×4, first 2 shown]
.LBB0_3:
	s_or_b32 exec_lo, exec_lo, s2
	s_waitcnt lgkmcnt(0)
	s_barrier
	buffer_gl0_inv
	ds_read_b128 v[32:35], v149
	ds_read_b128 v[36:39], v149 offset:768
	ds_read_b128 v[44:47], v149 offset:2112
	;; [unrolled: 1-line block ×7, first 2 shown]
                                        ; implicit-def: $vgpr48_vgpr49
                                        ; implicit-def: $vgpr68_vgpr69
                                        ; implicit-def: $vgpr60_vgpr61
                                        ; implicit-def: $vgpr52_vgpr53
	s_and_saveexec_b32 s0, vcc_lo
	s_cbranch_execz .LBB0_5
; %bb.4:
	ds_read_b128 v[48:51], v149 offset:1536
	ds_read_b128 v[52:55], v149 offset:3648
	;; [unrolled: 1-line block ×4, first 2 shown]
.LBB0_5:
	s_or_b32 exec_lo, exec_lo, s0
	s_waitcnt lgkmcnt(3)
	v_add_f64 v[76:77], v[32:33], -v[76:77]
	v_add_f64 v[78:79], v[34:35], -v[78:79]
	s_waitcnt lgkmcnt(1)
	v_add_f64 v[72:73], v[44:45], -v[72:73]
	v_add_f64 v[74:75], v[46:47], -v[74:75]
	;; [unrolled: 1-line block ×4, first 2 shown]
	s_waitcnt lgkmcnt(0)
	v_add_f64 v[56:57], v[40:41], -v[56:57]
	v_add_f64 v[58:59], v[42:43], -v[58:59]
	;; [unrolled: 1-line block ×6, first 2 shown]
	v_add_co_u32 v101, null, v150, 48
	v_add_co_u32 v100, null, 0x60, v150
	v_lshlrev_b32_e32 v154, 6, v150
	v_lshlrev_b32_e32 v155, 6, v101
	;; [unrolled: 1-line block ×3, first 2 shown]
	s_barrier
	buffer_gl0_inv
	v_fma_f64 v[32:33], v[32:33], 2.0, -v[76:77]
	v_fma_f64 v[34:35], v[34:35], 2.0, -v[78:79]
	;; [unrolled: 1-line block ×12, first 2 shown]
	v_add_f64 v[52:53], v[80:81], -v[58:59]
	v_add_f64 v[54:55], v[82:83], v[56:57]
	v_add_f64 v[40:41], v[76:77], -v[74:75]
	v_add_f64 v[42:43], v[78:79], v[72:73]
	v_add_f64 v[56:57], v[32:33], -v[44:45]
	v_add_f64 v[58:59], v[34:35], -v[46:47]
	;; [unrolled: 1-line block ×5, first 2 shown]
	v_add_f64 v[38:39], v[86:87], v[64:65]
	v_add_f64 v[44:45], v[92:93], -v[48:49]
	v_add_f64 v[46:47], v[94:95], -v[50:51]
	v_fma_f64 v[68:69], v[80:81], 2.0, -v[52:53]
	v_fma_f64 v[70:71], v[82:83], 2.0, -v[54:55]
	;; [unrolled: 1-line block ×12, first 2 shown]
	v_lshlrev_b32_e32 v93, 2, v150
	v_lshlrev_b32_e32 v92, 2, v101
	ds_write_b128 v154, v[40:43] offset:48
	ds_write_b128 v154, v[64:67] offset:16
	;; [unrolled: 1-line block ×3, first 2 shown]
	ds_write_b128 v154, v[72:75]
	ds_write_b128 v155, v[76:79]
	ds_write_b128 v155, v[68:71] offset:16
	ds_write_b128 v155, v[60:63] offset:32
	;; [unrolled: 1-line block ×3, first 2 shown]
	s_and_saveexec_b32 s0, vcc_lo
	s_cbranch_execz .LBB0_7
; %bb.6:
	ds_write_b128 v153, v[32:35]
	ds_write_b128 v153, v[48:51] offset:16
	ds_write_b128 v153, v[44:47] offset:32
	;; [unrolled: 1-line block ×3, first 2 shown]
.LBB0_7:
	s_or_b32 exec_lo, exec_lo, s0
	s_waitcnt lgkmcnt(0)
	s_barrier
	buffer_gl0_inv
	ds_read_b128 v[52:55], v149
	ds_read_b128 v[64:67], v149 offset:768
	ds_read_b128 v[80:83], v149 offset:2112
	;; [unrolled: 1-line block ×7, first 2 shown]
	s_load_dwordx2 s[2:3], s[4:5], 0x8
	s_and_saveexec_b32 s0, vcc_lo
	s_cbranch_execz .LBB0_9
; %bb.8:
	ds_read_b128 v[32:35], v149 offset:1536
	ds_read_b128 v[48:51], v149 offset:3648
	;; [unrolled: 1-line block ×4, first 2 shown]
.LBB0_9:
	s_or_b32 exec_lo, exec_lo, s0
	v_and_b32_e32 v151, 3, v150
	v_lshlrev_b32_e32 v156, 2, v100
	s_waitcnt lgkmcnt(0)
	v_mad_u64_u32 v[40:41], null, v151, 48, s[2:3]
	v_and_or_b32 v93, 0xf0, v93, v151
	v_and_or_b32 v92, 0x1f0, v92, v151
	s_clause 0x2
	global_load_dwordx4 v[60:63], v[40:41], off
	global_load_dwordx4 v[56:59], v[40:41], off offset:16
	global_load_dwordx4 v[40:43], v[40:41], off offset:32
	v_lshlrev_b32_e32 v158, 4, v93
	v_lshlrev_b32_e32 v157, 4, v92
	s_waitcnt vmcnt(0)
	s_barrier
	buffer_gl0_inv
	v_mul_f64 v[94:95], v[82:83], v[62:63]
	v_mul_f64 v[96:97], v[80:81], v[62:63]
	;; [unrolled: 1-line block ×16, first 2 shown]
	v_fma_f64 v[80:81], v[80:81], v[60:61], -v[94:95]
	v_fma_f64 v[82:83], v[82:83], v[60:61], v[96:97]
	v_fma_f64 v[68:69], v[68:69], v[60:61], -v[108:109]
	v_fma_f64 v[70:71], v[70:71], v[60:61], v[110:111]
	;; [unrolled: 2-line block ×4, first 2 shown]
	v_mul_f64 v[94:95], v[38:39], v[42:43]
	v_mul_f64 v[96:97], v[36:37], v[42:43]
	v_fma_f64 v[84:85], v[84:85], v[56:57], -v[98:99]
	v_fma_f64 v[86:87], v[86:87], v[56:57], v[102:103]
	v_fma_f64 v[88:89], v[88:89], v[40:41], -v[104:105]
	v_fma_f64 v[90:91], v[90:91], v[40:41], v[106:107]
	;; [unrolled: 2-line block ×4, first 2 shown]
	v_add_f64 v[72:73], v[64:65], -v[72:73]
	v_add_f64 v[74:75], v[66:67], -v[74:75]
	v_add_f64 v[76:77], v[68:69], -v[76:77]
	v_add_f64 v[78:79], v[70:71], -v[78:79]
	v_fma_f64 v[36:37], v[36:37], v[40:41], -v[94:95]
	v_fma_f64 v[38:39], v[38:39], v[40:41], v[96:97]
	v_add_f64 v[84:85], v[52:53], -v[84:85]
	v_add_f64 v[86:87], v[54:55], -v[86:87]
	;; [unrolled: 1-line block ×6, first 2 shown]
	v_fma_f64 v[94:95], v[64:65], 2.0, -v[72:73]
	v_fma_f64 v[96:97], v[66:67], 2.0, -v[74:75]
	;; [unrolled: 1-line block ×4, first 2 shown]
	v_add_f64 v[70:71], v[98:99], -v[36:37]
	v_add_f64 v[68:69], v[102:103], -v[38:39]
	v_fma_f64 v[88:89], v[52:53], 2.0, -v[84:85]
	v_fma_f64 v[90:91], v[54:55], 2.0, -v[86:87]
	;; [unrolled: 1-line block ×4, first 2 shown]
	v_add_f64 v[36:37], v[84:85], -v[50:51]
	v_add_f64 v[38:39], v[86:87], v[48:49]
	v_add_f64 v[48:49], v[72:73], -v[78:79]
	v_add_f64 v[50:51], v[74:75], v[76:77]
	v_fma_f64 v[32:33], v[32:33], 2.0, -v[44:45]
	v_fma_f64 v[34:35], v[34:35], 2.0, -v[46:47]
	v_add_f64 v[64:65], v[94:95], -v[64:65]
	v_add_f64 v[66:67], v[96:97], -v[66:67]
	v_fma_f64 v[98:99], v[98:99], 2.0, -v[70:71]
	v_fma_f64 v[102:103], v[102:103], 2.0, -v[68:69]
	v_add_f64 v[68:69], v[44:45], -v[68:69]
	v_add_f64 v[70:71], v[46:47], v[70:71]
	v_add_f64 v[52:53], v[88:89], -v[52:53]
	v_add_f64 v[54:55], v[90:91], -v[54:55]
	v_fma_f64 v[76:77], v[84:85], 2.0, -v[36:37]
	v_fma_f64 v[78:79], v[86:87], 2.0, -v[38:39]
	;; [unrolled: 1-line block ×4, first 2 shown]
	v_add_f64 v[72:73], v[32:33], -v[98:99]
	v_add_f64 v[74:75], v[34:35], -v[102:103]
	v_fma_f64 v[44:45], v[44:45], 2.0, -v[68:69]
	v_fma_f64 v[46:47], v[46:47], 2.0, -v[70:71]
	;; [unrolled: 1-line block ×6, first 2 shown]
	ds_write_b128 v158, v[36:39] offset:192
	ds_write_b128 v158, v[76:79] offset:64
	;; [unrolled: 1-line block ×3, first 2 shown]
	ds_write_b128 v158, v[84:87]
	ds_write_b128 v157, v[88:91]
	ds_write_b128 v157, v[80:83] offset:64
	ds_write_b128 v157, v[64:67] offset:128
	;; [unrolled: 1-line block ×3, first 2 shown]
	s_and_saveexec_b32 s0, vcc_lo
	s_cbranch_execz .LBB0_11
; %bb.10:
	v_fma_f64 v[34:35], v[34:35], 2.0, -v[74:75]
	v_fma_f64 v[32:33], v[32:33], 2.0, -v[72:73]
	v_and_or_b32 v36, 0x3f0, v156, v151
	v_lshlrev_b32_e32 v36, 4, v36
	ds_write_b128 v36, v[44:47] offset:64
	ds_write_b128 v36, v[72:75] offset:128
	ds_write_b128 v36, v[32:35]
	ds_write_b128 v36, v[68:71] offset:192
.LBB0_11:
	s_or_b32 exec_lo, exec_lo, s0
	s_waitcnt lgkmcnt(0)
	s_barrier
	buffer_gl0_inv
	ds_read_b128 v[52:55], v149
	ds_read_b128 v[48:51], v149 offset:768
	ds_read_b128 v[84:87], v149 offset:5632
	;; [unrolled: 1-line block ×8, first 2 shown]
	v_cmp_gt_u16_e64 s0, 32, v150
	s_and_saveexec_b32 s1, s0
	s_cbranch_execz .LBB0_13
; %bb.12:
	ds_read_b128 v[44:47], v149 offset:2304
	ds_read_b128 v[72:75], v149 offset:5120
	;; [unrolled: 1-line block ×3, first 2 shown]
.LBB0_13:
	s_or_b32 exec_lo, exec_lo, s1
	v_and_b32_e32 v152, 15, v150
	v_lshrrev_b32_e32 v134, 4, v101
	v_lshrrev_b32_e32 v135, 4, v100
	s_mov_b32 s4, 0xe8584caa
	s_mov_b32 s5, 0x3febb67a
	v_lshlrev_b32_e32 v32, 5, v152
	s_mov_b32 s13, 0xbfebb67a
	s_mov_b32 s12, s4
	s_clause 0x1
	global_load_dwordx4 v[36:39], v32, s[2:3] offset:192
	global_load_dwordx4 v[32:35], v32, s[2:3] offset:208
	s_waitcnt vmcnt(0) lgkmcnt(0)
	s_barrier
	buffer_gl0_inv
	v_mul_f64 v[102:103], v[98:99], v[38:39]
	v_mul_f64 v[104:105], v[96:97], v[38:39]
	;; [unrolled: 1-line block ×16, first 2 shown]
	v_fma_f64 v[96:97], v[96:97], v[36:37], -v[102:103]
	v_fma_f64 v[98:99], v[98:99], v[36:37], v[104:105]
	v_fma_f64 v[84:85], v[84:85], v[32:33], -v[106:107]
	v_fma_f64 v[86:87], v[86:87], v[32:33], v[108:109]
	;; [unrolled: 2-line block ×8, first 2 shown]
	v_lshrrev_b32_e32 v133, 4, v150
	v_add_co_u32 v132, null, 0x90, v150
	v_lshrrev_b32_e32 v159, 4, v132
	v_add_f64 v[116:117], v[52:53], v[96:97]
	v_add_f64 v[102:103], v[96:97], v[84:85]
	;; [unrolled: 1-line block ×3, first 2 shown]
	v_add_f64 v[118:119], v[98:99], -v[86:87]
	v_add_f64 v[98:99], v[54:55], v[98:99]
	v_add_f64 v[106:107], v[92:93], v[76:77]
	;; [unrolled: 1-line block ×3, first 2 shown]
	v_add_f64 v[96:97], v[96:97], -v[84:85]
	v_add_f64 v[120:121], v[48:49], v[92:93]
	v_add_f64 v[100:101], v[72:73], v[68:69]
	;; [unrolled: 1-line block ×4, first 2 shown]
	v_add_f64 v[94:95], v[94:95], -v[78:79]
	v_add_f64 v[110:111], v[88:89], v[80:81]
	v_add_f64 v[112:113], v[90:91], v[82:83]
	v_add_f64 v[92:93], v[92:93], -v[76:77]
	v_add_f64 v[124:125], v[64:65], v[88:89]
	v_add_f64 v[126:127], v[66:67], v[90:91]
	v_add_f64 v[128:129], v[90:91], -v[82:83]
	v_add_f64 v[130:131], v[88:89], -v[80:81]
	v_fma_f64 v[102:103], v[102:103], -0.5, v[52:53]
	v_fma_f64 v[104:105], v[104:105], -0.5, v[54:55]
	v_add_f64 v[54:55], v[72:73], -v[68:69]
	v_fma_f64 v[106:107], v[106:107], -0.5, v[48:49]
	v_fma_f64 v[108:109], v[108:109], -0.5, v[50:51]
	v_add_f64 v[50:51], v[74:75], -v[70:71]
	v_add_f64 v[76:77], v[120:121], v[76:77]
	v_fma_f64 v[48:49], v[100:101], -0.5, v[44:45]
	v_fma_f64 v[52:53], v[114:115], -0.5, v[46:47]
	v_add_f64 v[78:79], v[122:123], v[78:79]
	v_mul_u32_u24_e32 v114, 48, v133
	v_fma_f64 v[110:111], v[110:111], -0.5, v[64:65]
	v_fma_f64 v[112:113], v[112:113], -0.5, v[66:67]
	v_add_f64 v[64:65], v[116:117], v[84:85]
	v_add_f64 v[66:67], v[98:99], v[86:87]
	;; [unrolled: 1-line block ×4, first 2 shown]
	v_or_b32_e32 v114, v114, v152
	v_fma_f64 v[84:85], v[118:119], s[4:5], v[102:103]
	v_fma_f64 v[88:89], v[118:119], s[12:13], v[102:103]
	;; [unrolled: 1-line block ×10, first 2 shown]
	v_lshlrev_b32_e32 v162, 4, v114
	v_fma_f64 v[104:105], v[128:129], s[4:5], v[110:111]
	v_fma_f64 v[108:109], v[128:129], s[12:13], v[110:111]
	;; [unrolled: 1-line block ×4, first 2 shown]
	v_mul_u32_u24_e32 v112, 48, v134
	v_mul_u32_u24_e32 v113, 48, v135
	v_or_b32_e32 v112, v112, v152
	v_or_b32_e32 v113, v113, v152
	v_lshlrev_b32_e32 v161, 4, v112
	v_lshlrev_b32_e32 v160, 4, v113
	ds_write_b128 v162, v[64:67]
	ds_write_b128 v162, v[84:87] offset:256
	ds_write_b128 v162, v[88:91] offset:512
	ds_write_b128 v161, v[76:79]
	ds_write_b128 v161, v[96:99] offset:256
	ds_write_b128 v161, v[100:103] offset:512
	;; [unrolled: 3-line block ×3, first 2 shown]
	s_and_saveexec_b32 s1, s0
	s_cbranch_execz .LBB0_15
; %bb.14:
	v_mul_f64 v[54:55], v[54:55], s[4:5]
	v_add_f64 v[64:65], v[46:47], v[74:75]
	v_add_f64 v[44:45], v[44:45], v[72:73]
	v_mul_f64 v[66:67], v[50:51], s[4:5]
	v_add_f64 v[46:47], v[52:53], -v[54:55]
	v_add_f64 v[52:53], v[64:65], v[70:71]
	v_add_f64 v[50:51], v[44:45], v[68:69]
	;; [unrolled: 1-line block ×3, first 2 shown]
	v_mul_u32_u24_e32 v48, 48, v159
	v_or_b32_e32 v48, v48, v152
	v_lshlrev_b32_e32 v48, 4, v48
	ds_write_b128 v48, v[50:53]
	ds_write_b128 v48, v[44:47] offset:256
	ds_write_b128 v48, v[92:95] offset:512
.LBB0_15:
	s_or_b32 exec_lo, exec_lo, s1
	v_mad_u64_u32 v[167:168], null, 0xa0, v150, s[2:3]
	s_waitcnt lgkmcnt(0)
	s_barrier
	buffer_gl0_inv
	ds_read_b128 v[100:103], v149
	ds_read_b128 v[64:67], v149 offset:768
	ds_read_b128 v[68:71], v149 offset:1536
	;; [unrolled: 1-line block ×10, first 2 shown]
	s_mov_b32 s22, 0xf8bb580b
	s_mov_b32 s4, 0x43842ef
	s_clause 0x3
	global_load_dwordx4 v[44:47], v[167:168], off offset:752
	global_load_dwordx4 v[48:51], v[167:168], off offset:736
	;; [unrolled: 1-line block ×4, first 2 shown]
	s_mov_b32 s20, 0xbb3a28a1
	s_mov_b32 s24, 0xfd768dbf
	s_mov_b32 s23, 0xbfe14ced
	s_mov_b32 s15, 0xbfed1bb4
	s_mov_b32 s14, 0x8eee2c13
	s_mov_b32 s5, 0xbfefac9e
	s_mov_b32 s21, 0xbfe82f19
	s_mov_b32 s25, 0xbfd207e7
	s_mov_b32 s16, 0x8764f0ba
	s_mov_b32 s12, 0xd9c712b6
	s_mov_b32 s2, 0x640f44db
	s_mov_b32 s18, 0x7f775887
	s_mov_b32 s26, 0x9bcd5057
	s_mov_b32 s17, 0x3feaeb8c
	s_mov_b32 s13, 0x3fda9628
	s_mov_b32 s3, 0xbfc2375f
	s_mov_b32 s19, 0xbfe4f49e
	s_mov_b32 s27, 0xbfeeb42a
	s_mov_b32 s35, 0x3fd207e7
	s_mov_b32 s34, s24
	s_mov_b32 s31, 0x3fefac9e
	s_mov_b32 s30, s4
	s_mov_b32 s29, 0x3fe14ced
	s_mov_b32 s28, s22
	s_waitcnt vmcnt(0) lgkmcnt(9)
	v_mul_f64 v[104:105], v[66:67], v[78:79]
	v_fma_f64 v[169:170], v[64:65], v[76:77], -v[104:105]
	v_mul_f64 v[64:65], v[64:65], v[78:79]
	v_fma_f64 v[171:172], v[66:67], v[76:77], v[64:65]
	s_waitcnt lgkmcnt(8)
	v_mul_f64 v[64:65], v[70:71], v[54:55]
	v_fma_f64 v[128:129], v[68:69], v[52:53], -v[64:65]
	v_mul_f64 v[64:65], v[68:69], v[54:55]
	v_fma_f64 v[126:127], v[70:71], v[52:53], v[64:65]
	s_waitcnt lgkmcnt(7)
	;; [unrolled: 5-line block ×3, first 2 shown]
	v_mul_f64 v[64:65], v[82:83], v[46:47]
	v_fma_f64 v[116:117], v[80:81], v[44:45], -v[64:65]
	v_mul_f64 v[64:65], v[80:81], v[46:47]
	v_fma_f64 v[108:109], v[82:83], v[44:45], v[64:65]
	s_clause 0x3
	global_load_dwordx4 v[72:75], v[167:168], off offset:816
	global_load_dwordx4 v[68:71], v[167:168], off offset:800
	;; [unrolled: 1-line block ×4, first 2 shown]
	s_waitcnt vmcnt(0) lgkmcnt(5)
	v_mul_f64 v[104:105], v[86:87], v[82:83]
	v_fma_f64 v[110:111], v[84:85], v[80:81], -v[104:105]
	v_mul_f64 v[84:85], v[84:85], v[82:83]
	v_fma_f64 v[104:105], v[86:87], v[80:81], v[84:85]
	s_waitcnt lgkmcnt(4)
	v_mul_f64 v[84:85], v[90:91], v[66:67]
	v_fma_f64 v[112:113], v[88:89], v[64:65], -v[84:85]
	v_mul_f64 v[84:85], v[88:89], v[66:67]
	v_fma_f64 v[106:107], v[90:91], v[64:65], v[84:85]
	s_waitcnt lgkmcnt(3)
	;; [unrolled: 5-line block ×3, first 2 shown]
	v_mul_f64 v[84:85], v[134:135], v[74:75]
	v_add_f64 v[98:99], v[102:103], v[171:172]
	v_fma_f64 v[130:131], v[132:133], v[72:73], -v[84:85]
	v_mul_f64 v[84:85], v[132:133], v[74:75]
	v_add_f64 v[98:99], v[98:99], v[126:127]
	v_fma_f64 v[122:123], v[134:135], v[72:73], v[84:85]
	s_clause 0x1
	global_load_dwordx4 v[84:87], v[167:168], off offset:848
	global_load_dwordx4 v[88:91], v[167:168], off offset:832
	v_add_f64 v[98:99], v[98:99], v[118:119]
	v_add_f64 v[98:99], v[98:99], v[108:109]
	;; [unrolled: 1-line block ×6, first 2 shown]
	s_waitcnt vmcnt(0) lgkmcnt(1)
	v_mul_f64 v[96:97], v[138:139], v[90:91]
	v_fma_f64 v[132:133], v[136:137], v[88:89], -v[96:97]
	v_mul_f64 v[96:97], v[136:137], v[90:91]
	v_fma_f64 v[134:135], v[138:139], v[88:89], v[96:97]
	s_waitcnt lgkmcnt(0)
	v_mul_f64 v[96:97], v[165:166], v[86:87]
	v_add_f64 v[98:99], v[98:99], v[134:135]
	v_fma_f64 v[136:137], v[163:164], v[84:85], -v[96:97]
	v_mul_f64 v[96:97], v[163:164], v[86:87]
	v_add_f64 v[163:164], v[169:170], v[136:137]
	v_fma_f64 v[138:139], v[165:166], v[84:85], v[96:97]
	v_add_f64 v[96:97], v[100:101], v[169:170]
	v_add_f64 v[98:99], v[98:99], v[138:139]
	;; [unrolled: 1-line block ×4, first 2 shown]
	v_add_f64 v[138:139], v[171:172], -v[138:139]
	v_add_f64 v[96:97], v[96:97], v[124:125]
	v_mul_f64 v[167:168], v[138:139], s[22:23]
	v_mul_f64 v[175:176], v[138:139], s[14:15]
	;; [unrolled: 1-line block ×5, first 2 shown]
	v_add_f64 v[96:97], v[96:97], v[116:117]
	v_fma_f64 v[177:178], v[163:164], s[12:13], -v[175:176]
	v_fma_f64 v[175:176], v[163:164], s[12:13], v[175:176]
	v_fma_f64 v[185:186], v[163:164], s[2:3], -v[183:184]
	v_fma_f64 v[183:184], v[163:164], s[2:3], v[183:184]
	;; [unrolled: 2-line block ×4, first 2 shown]
	v_add_f64 v[96:97], v[96:97], v[110:111]
	v_add_f64 v[177:178], v[100:101], v[177:178]
	;; [unrolled: 1-line block ×13, first 2 shown]
	v_add_f64 v[136:137], v[169:170], -v[136:137]
	v_fma_f64 v[169:170], v[163:164], s[16:17], -v[167:168]
	v_fma_f64 v[167:168], v[163:164], s[16:17], v[167:168]
	v_mul_f64 v[171:172], v[136:137], s[22:23]
	v_mul_f64 v[179:180], v[136:137], s[14:15]
	;; [unrolled: 1-line block ×5, first 2 shown]
	v_add_f64 v[169:170], v[100:101], v[169:170]
	v_add_f64 v[167:168], v[100:101], v[167:168]
	;; [unrolled: 1-line block ×4, first 2 shown]
	v_add_f64 v[126:127], v[126:127], -v[134:135]
	v_fma_f64 v[173:174], v[165:166], s[16:17], v[171:172]
	v_fma_f64 v[171:172], v[165:166], s[16:17], -v[171:172]
	v_fma_f64 v[181:182], v[165:166], s[12:13], v[179:180]
	v_fma_f64 v[179:180], v[165:166], s[12:13], -v[179:180]
	;; [unrolled: 2-line block ×5, first 2 shown]
	v_add_f64 v[173:174], v[102:103], v[173:174]
	v_add_f64 v[171:172], v[102:103], v[171:172]
	;; [unrolled: 1-line block ×11, first 2 shown]
	v_add_f64 v[128:129], v[128:129], -v[132:133]
	v_mul_f64 v[132:133], v[126:127], s[14:15]
	v_mul_f64 v[163:164], v[128:129], s[14:15]
	v_fma_f64 v[134:135], v[136:137], s[12:13], -v[132:133]
	v_fma_f64 v[132:133], v[136:137], s[12:13], v[132:133]
	s_mov_b32 s15, 0x3fed1bb4
	v_fma_f64 v[165:166], v[138:139], s[12:13], v[163:164]
	v_add_f64 v[134:135], v[134:135], v[169:170]
	v_add_f64 v[132:133], v[132:133], v[167:168]
	v_mul_f64 v[167:168], v[126:127], s[20:21]
	v_fma_f64 v[163:164], v[138:139], s[12:13], -v[163:164]
	v_add_f64 v[165:166], v[165:166], v[173:174]
	v_fma_f64 v[169:170], v[136:137], s[18:19], -v[167:168]
	v_fma_f64 v[167:168], v[136:137], s[18:19], v[167:168]
	v_add_f64 v[163:164], v[163:164], v[171:172]
	v_mul_f64 v[171:172], v[128:129], s[20:21]
	v_add_f64 v[169:170], v[169:170], v[177:178]
	v_add_f64 v[167:168], v[167:168], v[175:176]
	v_mul_f64 v[175:176], v[126:127], s[34:35]
	v_fma_f64 v[173:174], v[138:139], s[18:19], v[171:172]
	v_fma_f64 v[171:172], v[138:139], s[18:19], -v[171:172]
	v_fma_f64 v[177:178], v[136:137], s[26:27], -v[175:176]
	v_fma_f64 v[175:176], v[136:137], s[26:27], v[175:176]
	v_add_f64 v[171:172], v[171:172], v[179:180]
	v_mul_f64 v[179:180], v[128:129], s[34:35]
	v_add_f64 v[173:174], v[173:174], v[181:182]
	v_add_f64 v[177:178], v[177:178], v[185:186]
	;; [unrolled: 1-line block ×3, first 2 shown]
	v_mul_f64 v[183:184], v[126:127], s[30:31]
	v_fma_f64 v[181:182], v[138:139], s[26:27], v[179:180]
	v_fma_f64 v[179:180], v[138:139], s[26:27], -v[179:180]
	v_mul_f64 v[126:127], v[126:127], s[28:29]
	v_fma_f64 v[185:186], v[136:137], s[2:3], -v[183:184]
	v_fma_f64 v[183:184], v[136:137], s[2:3], v[183:184]
	v_add_f64 v[179:180], v[179:180], v[187:188]
	v_mul_f64 v[187:188], v[128:129], s[30:31]
	v_mul_f64 v[128:129], v[128:129], s[28:29]
	v_add_f64 v[181:182], v[181:182], v[189:190]
	v_add_f64 v[185:186], v[185:186], v[193:194]
	;; [unrolled: 1-line block ×3, first 2 shown]
	v_fma_f64 v[191:192], v[136:137], s[16:17], -v[126:127]
	v_fma_f64 v[126:127], v[136:137], s[16:17], v[126:127]
	v_fma_f64 v[193:194], v[138:139], s[16:17], v[128:129]
	;; [unrolled: 1-line block ×3, first 2 shown]
	v_fma_f64 v[187:188], v[138:139], s[2:3], -v[187:188]
	v_add_f64 v[191:192], v[191:192], v[199:200]
	v_add_f64 v[100:101], v[126:127], v[100:101]
	v_fma_f64 v[126:127], v[138:139], s[16:17], -v[128:129]
	v_add_f64 v[128:129], v[118:119], v[122:123]
	v_add_f64 v[118:119], v[118:119], -v[122:123]
	v_add_f64 v[187:188], v[187:188], v[195:196]
	v_add_f64 v[189:190], v[189:190], v[197:198]
	;; [unrolled: 1-line block ×5, first 2 shown]
	v_mul_f64 v[122:123], v[118:119], s[4:5]
	v_add_f64 v[124:125], v[124:125], -v[130:131]
	v_fma_f64 v[130:131], v[126:127], s[2:3], -v[122:123]
	v_fma_f64 v[122:123], v[126:127], s[2:3], v[122:123]
	v_add_f64 v[130:131], v[130:131], v[134:135]
	v_mul_f64 v[134:135], v[124:125], s[4:5]
	v_add_f64 v[122:123], v[122:123], v[132:133]
	v_fma_f64 v[136:137], v[128:129], s[2:3], v[134:135]
	v_fma_f64 v[132:133], v[128:129], s[2:3], -v[134:135]
	v_mul_f64 v[134:135], v[118:119], s[34:35]
	v_add_f64 v[136:137], v[136:137], v[165:166]
	v_add_f64 v[132:133], v[132:133], v[163:164]
	v_fma_f64 v[138:139], v[126:127], s[26:27], -v[134:135]
	v_fma_f64 v[134:135], v[126:127], s[26:27], v[134:135]
	v_mul_f64 v[163:164], v[124:125], s[34:35]
	v_add_f64 v[138:139], v[138:139], v[169:170]
	v_add_f64 v[134:135], v[134:135], v[167:168]
	v_mul_f64 v[167:168], v[118:119], s[14:15]
	v_fma_f64 v[165:166], v[128:129], s[26:27], v[163:164]
	v_fma_f64 v[163:164], v[128:129], s[26:27], -v[163:164]
	v_fma_f64 v[169:170], v[126:127], s[12:13], -v[167:168]
	v_fma_f64 v[167:168], v[126:127], s[12:13], v[167:168]
	v_add_f64 v[163:164], v[163:164], v[171:172]
	v_mul_f64 v[171:172], v[124:125], s[14:15]
	v_add_f64 v[165:166], v[165:166], v[173:174]
	v_add_f64 v[169:170], v[169:170], v[177:178]
	;; [unrolled: 1-line block ×3, first 2 shown]
	v_mul_f64 v[175:176], v[118:119], s[22:23]
	v_fma_f64 v[173:174], v[128:129], s[12:13], v[171:172]
	v_fma_f64 v[171:172], v[128:129], s[12:13], -v[171:172]
	v_mul_f64 v[118:119], v[118:119], s[20:21]
	v_fma_f64 v[177:178], v[126:127], s[16:17], -v[175:176]
	v_fma_f64 v[175:176], v[126:127], s[16:17], v[175:176]
	v_add_f64 v[171:172], v[171:172], v[179:180]
	v_mul_f64 v[179:180], v[124:125], s[22:23]
	v_mul_f64 v[124:125], v[124:125], s[20:21]
	v_add_f64 v[173:174], v[173:174], v[181:182]
	v_add_f64 v[177:178], v[177:178], v[185:186]
	;; [unrolled: 1-line block ×3, first 2 shown]
	v_fma_f64 v[183:184], v[126:127], s[18:19], -v[118:119]
	v_fma_f64 v[118:119], v[126:127], s[18:19], v[118:119]
	v_add_f64 v[126:127], v[108:109], v[114:115]
	v_add_f64 v[108:109], v[108:109], -v[114:115]
	v_fma_f64 v[181:182], v[128:129], s[16:17], v[179:180]
	v_fma_f64 v[179:180], v[128:129], s[16:17], -v[179:180]
	v_fma_f64 v[185:186], v[128:129], s[18:19], v[124:125]
	v_add_f64 v[183:184], v[183:184], v[191:192]
	v_add_f64 v[100:101], v[118:119], v[100:101]
	v_fma_f64 v[118:119], v[128:129], s[18:19], -v[124:125]
	v_mul_f64 v[114:115], v[108:109], s[20:21]
	v_add_f64 v[181:182], v[181:182], v[189:190]
	v_add_f64 v[179:180], v[179:180], v[187:188]
	;; [unrolled: 1-line block ×5, first 2 shown]
	v_add_f64 v[116:117], v[116:117], -v[120:121]
	v_fma_f64 v[120:121], v[118:119], s[18:19], -v[114:115]
	v_fma_f64 v[114:115], v[118:119], s[18:19], v[114:115]
	v_add_f64 v[130:131], v[120:121], v[130:131]
	v_mul_f64 v[120:121], v[116:117], s[20:21]
	v_add_f64 v[187:188], v[114:115], v[122:123]
	v_fma_f64 v[114:115], v[126:127], s[18:19], -v[120:121]
	v_fma_f64 v[124:125], v[126:127], s[18:19], v[120:121]
	v_add_f64 v[132:133], v[114:115], v[132:133]
	v_mul_f64 v[114:115], v[108:109], s[30:31]
	v_add_f64 v[136:137], v[124:125], v[136:137]
	;; [unrolled: 5-line block ×5, first 2 shown]
	v_fma_f64 v[114:115], v[126:127], s[16:17], -v[120:121]
	v_fma_f64 v[122:123], v[126:127], s[16:17], v[120:121]
	v_add_f64 v[171:172], v[114:115], v[171:172]
	v_mul_f64 v[114:115], v[108:109], s[24:25]
	v_mul_f64 v[108:109], v[108:109], s[14:15]
	v_add_f64 v[173:174], v[122:123], v[173:174]
	v_fma_f64 v[120:121], v[118:119], s[26:27], -v[114:115]
	v_fma_f64 v[114:115], v[118:119], s[26:27], v[114:115]
	v_add_f64 v[177:178], v[120:121], v[177:178]
	v_mul_f64 v[120:121], v[116:117], s[24:25]
	v_add_f64 v[175:176], v[114:115], v[175:176]
	v_fma_f64 v[114:115], v[126:127], s[26:27], -v[120:121]
	v_fma_f64 v[122:123], v[126:127], s[26:27], v[120:121]
	v_add_f64 v[179:180], v[114:115], v[179:180]
	v_fma_f64 v[114:115], v[118:119], s[12:13], -v[108:109]
	v_fma_f64 v[108:109], v[118:119], s[12:13], v[108:109]
	v_add_f64 v[181:182], v[122:123], v[181:182]
	v_add_f64 v[122:123], v[110:111], v[112:113]
	;; [unrolled: 1-line block ×4, first 2 shown]
	v_mul_f64 v[114:115], v[116:117], s[14:15]
	v_add_f64 v[120:121], v[108:109], v[100:101]
	v_add_f64 v[183:184], v[104:105], -v[106:107]
	v_fma_f64 v[116:117], v[126:127], s[12:13], v[114:115]
	v_fma_f64 v[100:101], v[126:127], s[12:13], -v[114:115]
	v_add_f64 v[126:127], v[110:111], -v[112:113]
	v_add_f64 v[124:125], v[116:117], v[185:186]
	v_add_f64 v[116:117], v[100:101], v[102:103]
	v_mul_f64 v[100:101], v[183:184], s[24:25]
	v_fma_f64 v[102:103], v[122:123], s[26:27], -v[100:101]
	v_fma_f64 v[100:101], v[122:123], s[26:27], v[100:101]
	v_add_f64 v[112:113], v[102:103], v[130:131]
	v_mul_f64 v[102:103], v[126:127], s[24:25]
	v_add_f64 v[100:101], v[100:101], v[187:188]
	v_fma_f64 v[104:105], v[118:119], s[26:27], v[102:103]
	v_fma_f64 v[102:103], v[118:119], s[26:27], -v[102:103]
	v_add_f64 v[114:115], v[104:105], v[136:137]
	v_mul_f64 v[104:105], v[183:184], s[28:29]
	v_add_f64 v[102:103], v[102:103], v[132:133]
	v_fma_f64 v[106:107], v[122:123], s[16:17], -v[104:105]
	v_fma_f64 v[104:105], v[122:123], s[16:17], v[104:105]
	v_add_f64 v[130:131], v[106:107], v[138:139]
	v_mul_f64 v[106:107], v[126:127], s[28:29]
	v_mul_f64 v[138:139], v[183:184], s[14:15]
	v_add_f64 v[104:105], v[104:105], v[134:135]
	v_fma_f64 v[108:109], v[118:119], s[16:17], v[106:107]
	v_fma_f64 v[106:107], v[118:119], s[16:17], -v[106:107]
	v_add_f64 v[132:133], v[108:109], v[165:166]
	v_mul_f64 v[108:109], v[183:184], s[20:21]
	v_add_f64 v[106:107], v[106:107], v[163:164]
	v_fma_f64 v[163:164], v[122:123], s[12:13], -v[138:139]
	v_fma_f64 v[138:139], v[122:123], s[12:13], v[138:139]
	v_fma_f64 v[110:111], v[122:123], s[18:19], -v[108:109]
	v_fma_f64 v[108:109], v[122:123], s[18:19], v[108:109]
	v_add_f64 v[163:164], v[163:164], v[177:178]
	v_add_f64 v[134:135], v[110:111], v[169:170]
	v_mul_f64 v[169:170], v[126:127], s[14:15]
	v_mul_f64 v[110:111], v[126:127], s[20:21]
	v_add_f64 v[108:109], v[108:109], v[167:168]
	v_add_f64 v[167:168], v[138:139], v[175:176]
	v_mul_f64 v[126:127], v[126:127], s[4:5]
	v_fma_f64 v[138:139], v[118:119], s[12:13], -v[169:170]
	v_fma_f64 v[136:137], v[118:119], s[18:19], v[110:111]
	v_fma_f64 v[110:111], v[118:119], s[18:19], -v[110:111]
	v_fma_f64 v[165:166], v[118:119], s[12:13], v[169:170]
	v_add_f64 v[169:170], v[138:139], v[179:180]
	v_mul_f64 v[138:139], v[183:184], s[4:5]
	v_add_f64 v[110:111], v[110:111], v[171:172]
	v_add_f64 v[136:137], v[136:137], v[173:174]
	;; [unrolled: 1-line block ×3, first 2 shown]
	v_fma_f64 v[171:172], v[122:123], s[2:3], -v[138:139]
	v_fma_f64 v[122:123], v[122:123], s[2:3], v[138:139]
	v_add_f64 v[171:172], v[171:172], v[128:129]
	v_fma_f64 v[128:129], v[118:119], s[2:3], v[126:127]
	v_fma_f64 v[118:119], v[118:119], s[2:3], -v[126:127]
	v_add_f64 v[120:121], v[122:123], v[120:121]
	v_add_f64 v[173:174], v[128:129], v[124:125]
	;; [unrolled: 1-line block ×3, first 2 shown]
	ds_write_b128 v149, v[96:99]
	ds_write_b128 v149, v[112:115] offset:768
	ds_write_b128 v149, v[130:133] offset:1536
	;; [unrolled: 1-line block ×10, first 2 shown]
	v_add_co_u32 v96, s1, 0x2100, v140
	v_add_co_ci_u32_e64 v97, s1, 0, v141, s1
	v_add_co_u32 v98, s1, 0x2000, v140
	v_add_co_ci_u32_e64 v99, s1, 0, v141, s1
	s_waitcnt lgkmcnt(0)
	s_barrier
	buffer_gl0_inv
	global_load_dwordx4 v[116:119], v[98:99], off offset:256
	ds_read_b128 v[112:115], v149
	s_waitcnt vmcnt(0) lgkmcnt(0)
	v_mul_f64 v[98:99], v[114:115], v[118:119]
	v_fma_f64 v[120:121], v[112:113], v[116:117], -v[98:99]
	v_mul_f64 v[98:99], v[112:113], v[118:119]
	v_fma_f64 v[122:123], v[114:115], v[116:117], v[98:99]
	v_add_co_u32 v98, s1, 0x2800, v140
	v_add_co_ci_u32_e64 v99, s1, 0, v141, s1
	ds_read_b128 v[112:115], v149 offset:2112
	v_add_co_u32 v124, s1, 0x3000, v140
	global_load_dwordx4 v[116:119], v[98:99], off offset:320
	v_add_co_ci_u32_e64 v125, s1, 0, v141, s1
	v_add_co_u32 v126, s1, 0x3800, v140
	v_add_co_ci_u32_e64 v127, s1, 0, v141, s1
	ds_write_b128 v149, v[120:123]
	s_waitcnt vmcnt(0) lgkmcnt(1)
	v_mul_f64 v[120:121], v[114:115], v[118:119]
	v_fma_f64 v[120:121], v[112:113], v[116:117], -v[120:121]
	v_mul_f64 v[112:113], v[112:113], v[118:119]
	v_fma_f64 v[122:123], v[114:115], v[116:117], v[112:113]
	global_load_dwordx4 v[116:119], v[124:125], off offset:384
	ds_read_b128 v[112:115], v149 offset:4224
	ds_write_b128 v149, v[120:123] offset:2112
	s_waitcnt vmcnt(0) lgkmcnt(1)
	v_mul_f64 v[120:121], v[114:115], v[118:119]
	v_fma_f64 v[120:121], v[112:113], v[116:117], -v[120:121]
	v_mul_f64 v[112:113], v[112:113], v[118:119]
	v_fma_f64 v[122:123], v[114:115], v[116:117], v[112:113]
	global_load_dwordx4 v[116:119], v[126:127], off offset:448
	ds_read_b128 v[112:115], v149 offset:6336
	ds_write_b128 v149, v[120:123] offset:4224
	;; [unrolled: 8-line block ×6, first 2 shown]
	s_waitcnt vmcnt(0) lgkmcnt(1)
	v_mul_f64 v[98:99], v[114:115], v[118:119]
	v_fma_f64 v[120:121], v[112:113], v[116:117], -v[98:99]
	v_mul_f64 v[98:99], v[112:113], v[118:119]
	v_fma_f64 v[122:123], v[114:115], v[116:117], v[98:99]
	ds_write_b128 v149, v[120:123] offset:7104
	s_and_saveexec_b32 s2, vcc_lo
	s_cbranch_execz .LBB0_17
; %bb.16:
	v_add_co_u32 v98, s1, 0x800, v96
	v_add_co_ci_u32_e64 v99, s1, 0, v97, s1
	v_add_co_u32 v116, s1, 0x1000, v96
	v_add_co_ci_u32_e64 v117, s1, 0, v97, s1
	v_add_co_u32 v120, s1, 0x1800, v96
	global_load_dwordx4 v[112:115], v[96:97], off offset:1536
	v_add_co_ci_u32_e64 v121, s1, 0, v97, s1
	s_clause 0x2
	global_load_dwordx4 v[96:99], v[98:99], off offset:1600
	global_load_dwordx4 v[116:119], v[116:117], off offset:1664
	;; [unrolled: 1-line block ×3, first 2 shown]
	ds_read_b128 v[124:127], v149 offset:1536
	ds_read_b128 v[128:131], v149 offset:3648
	;; [unrolled: 1-line block ×4, first 2 shown]
	s_waitcnt vmcnt(3) lgkmcnt(3)
	v_mul_f64 v[163:164], v[126:127], v[114:115]
	v_mul_f64 v[114:115], v[124:125], v[114:115]
	s_waitcnt vmcnt(2) lgkmcnt(2)
	v_mul_f64 v[165:166], v[130:131], v[98:99]
	v_mul_f64 v[98:99], v[128:129], v[98:99]
	;; [unrolled: 3-line block ×4, first 2 shown]
	v_fma_f64 v[122:123], v[124:125], v[112:113], -v[163:164]
	v_fma_f64 v[124:125], v[126:127], v[112:113], v[114:115]
	v_fma_f64 v[112:113], v[128:129], v[96:97], -v[165:166]
	v_fma_f64 v[114:115], v[130:131], v[96:97], v[98:99]
	;; [unrolled: 2-line block ×4, first 2 shown]
	ds_write_b128 v149, v[122:125] offset:1536
	ds_write_b128 v149, v[112:115] offset:3648
	;; [unrolled: 1-line block ×4, first 2 shown]
.LBB0_17:
	s_or_b32 exec_lo, exec_lo, s2
	s_waitcnt lgkmcnt(0)
	s_barrier
	buffer_gl0_inv
	ds_read_b128 v[96:99], v149
	ds_read_b128 v[112:115], v149 offset:768
	ds_read_b128 v[120:123], v149 offset:2112
	;; [unrolled: 1-line block ×7, first 2 shown]
	s_and_saveexec_b32 s1, vcc_lo
	s_cbranch_execz .LBB0_19
; %bb.18:
	ds_read_b128 v[108:111], v149 offset:1536
	ds_read_b128 v[104:107], v149 offset:3648
	;; [unrolled: 1-line block ×4, first 2 shown]
.LBB0_19:
	s_or_b32 exec_lo, exec_lo, s1
	s_waitcnt lgkmcnt(3)
	v_add_f64 v[136:137], v[96:97], -v[136:137]
	v_add_f64 v[138:139], v[98:99], -v[138:139]
	s_waitcnt lgkmcnt(1)
	v_add_f64 v[132:133], v[120:121], -v[132:133]
	v_add_f64 v[134:135], v[122:123], -v[134:135]
	;; [unrolled: 1-line block ×4, first 2 shown]
	s_waitcnt lgkmcnt(0)
	v_add_f64 v[124:125], v[116:117], -v[124:125]
	v_add_f64 v[126:127], v[118:119], -v[126:127]
	;; [unrolled: 1-line block ×6, first 2 shown]
	s_barrier
	buffer_gl0_inv
	v_fma_f64 v[167:168], v[96:97], 2.0, -v[136:137]
	v_fma_f64 v[169:170], v[98:99], 2.0, -v[138:139]
	;; [unrolled: 1-line block ×12, first 2 shown]
	v_add_f64 v[108:109], v[136:137], v[134:135]
	v_add_f64 v[110:111], v[138:139], -v[132:133]
	v_add_f64 v[112:113], v[128:129], v[126:127]
	v_add_f64 v[114:115], v[130:131], -v[124:125]
	v_add_f64 v[116:117], v[167:168], -v[96:97]
	v_add_f64 v[118:119], v[169:170], -v[98:99]
	v_add_f64 v[96:97], v[163:164], v[94:95]
	v_add_f64 v[98:99], v[165:166], -v[92:93]
	v_add_f64 v[120:121], v[171:172], -v[100:101]
	v_add_f64 v[122:123], v[173:174], -v[102:103]
	v_add_f64 v[100:101], v[175:176], -v[104:105]
	v_add_f64 v[102:103], v[177:178], -v[106:107]
	v_fma_f64 v[124:125], v[136:137], 2.0, -v[108:109]
	v_fma_f64 v[126:127], v[138:139], 2.0, -v[110:111]
	;; [unrolled: 1-line block ×10, first 2 shown]
	ds_write_b128 v154, v[108:111] offset:48
	ds_write_b128 v154, v[124:127] offset:16
	;; [unrolled: 1-line block ×3, first 2 shown]
	ds_write_b128 v154, v[132:135]
	ds_write_b128 v155, v[136:139]
	ds_write_b128 v155, v[128:131] offset:16
	ds_write_b128 v155, v[120:123] offset:32
	;; [unrolled: 1-line block ×3, first 2 shown]
	v_fma_f64 v[92:93], v[175:176], 2.0, -v[100:101]
	v_fma_f64 v[94:95], v[177:178], 2.0, -v[102:103]
	s_and_saveexec_b32 s1, vcc_lo
	s_cbranch_execz .LBB0_21
; %bb.20:
	ds_write_b128 v153, v[92:95]
	ds_write_b128 v153, v[104:107] offset:16
	ds_write_b128 v153, v[100:103] offset:32
	;; [unrolled: 1-line block ×3, first 2 shown]
.LBB0_21:
	s_or_b32 exec_lo, exec_lo, s1
	s_waitcnt lgkmcnt(0)
	s_barrier
	buffer_gl0_inv
	ds_read_b128 v[108:111], v149
	ds_read_b128 v[112:115], v149 offset:768
	ds_read_b128 v[128:131], v149 offset:2112
	;; [unrolled: 1-line block ×7, first 2 shown]
	s_and_saveexec_b32 s1, vcc_lo
	s_cbranch_execz .LBB0_23
; %bb.22:
	ds_read_b128 v[92:95], v149 offset:1536
	ds_read_b128 v[104:107], v149 offset:3648
	;; [unrolled: 1-line block ×4, first 2 shown]
.LBB0_23:
	s_or_b32 exec_lo, exec_lo, s1
	s_waitcnt lgkmcnt(5)
	v_mul_f64 v[153:154], v[62:63], v[130:131]
	s_waitcnt lgkmcnt(3)
	v_mul_f64 v[165:166], v[58:59], v[134:135]
	;; [unrolled: 2-line block ×3, first 2 shown]
	v_mul_f64 v[177:178], v[58:59], v[122:123]
	v_mul_f64 v[163:164], v[62:63], v[128:129]
	;; [unrolled: 1-line block ×7, first 2 shown]
	s_waitcnt lgkmcnt(0)
	v_mul_f64 v[181:182], v[42:43], v[126:127]
	v_mul_f64 v[183:184], v[42:43], v[124:125]
	;; [unrolled: 1-line block ×6, first 2 shown]
	s_barrier
	buffer_gl0_inv
	v_fma_f64 v[128:129], v[60:61], v[128:129], v[153:154]
	v_fma_f64 v[132:133], v[56:57], v[132:133], v[165:166]
	;; [unrolled: 1-line block ×4, first 2 shown]
	v_mul_f64 v[153:154], v[42:43], v[98:99]
	v_mul_f64 v[42:43], v[42:43], v[96:97]
	v_fma_f64 v[130:131], v[60:61], v[130:131], -v[163:164]
	v_fma_f64 v[134:135], v[56:57], v[134:135], -v[167:168]
	;; [unrolled: 1-line block ×3, first 2 shown]
	v_fma_f64 v[116:117], v[60:61], v[116:117], v[173:174]
	v_fma_f64 v[118:119], v[60:61], v[118:119], -v[175:176]
	v_fma_f64 v[122:123], v[56:57], v[122:123], -v[179:180]
	v_fma_f64 v[124:125], v[40:41], v[124:125], v[181:182]
	v_fma_f64 v[126:127], v[40:41], v[126:127], -v[183:184]
	v_fma_f64 v[163:164], v[60:61], v[104:105], v[185:186]
	;; [unrolled: 2-line block ×3, first 2 shown]
	v_fma_f64 v[56:57], v[56:57], v[102:103], -v[58:59]
	v_add_f64 v[132:133], v[108:109], -v[132:133]
	v_add_f64 v[58:59], v[128:129], -v[136:137]
	;; [unrolled: 1-line block ×3, first 2 shown]
	v_fma_f64 v[96:97], v[40:41], v[96:97], v[153:154]
	v_fma_f64 v[40:41], v[40:41], v[98:99], -v[42:43]
	v_add_f64 v[134:135], v[110:111], -v[134:135]
	v_add_f64 v[100:101], v[130:131], -v[138:139]
	;; [unrolled: 1-line block ×7, first 2 shown]
	v_fma_f64 v[62:63], v[108:109], 2.0, -v[132:133]
	v_fma_f64 v[56:57], v[128:129], 2.0, -v[58:59]
	;; [unrolled: 1-line block ×3, first 2 shown]
	v_add_f64 v[112:113], v[163:164], -v[96:97]
	v_add_f64 v[40:41], v[60:61], -v[40:41]
	v_fma_f64 v[124:125], v[110:111], 2.0, -v[134:135]
	v_fma_f64 v[106:107], v[130:131], 2.0, -v[100:101]
	v_add_f64 v[96:97], v[132:133], v[100:101]
	v_add_f64 v[98:99], v[134:135], -v[58:59]
	v_fma_f64 v[128:129], v[114:115], 2.0, -v[122:123]
	v_fma_f64 v[108:109], v[116:117], 2.0, -v[102:103]
	;; [unrolled: 1-line block ×3, first 2 shown]
	v_add_f64 v[100:101], v[120:121], v[104:105]
	v_add_f64 v[102:103], v[122:123], -v[102:103]
	v_fma_f64 v[92:93], v[92:93], 2.0, -v[42:43]
	v_fma_f64 v[94:95], v[94:95], 2.0, -v[136:137]
	v_add_f64 v[104:105], v[62:63], -v[56:57]
	v_fma_f64 v[130:131], v[163:164], 2.0, -v[112:113]
	v_fma_f64 v[138:139], v[60:61], 2.0, -v[40:41]
	v_add_f64 v[56:57], v[42:43], v[40:41]
	v_add_f64 v[58:59], v[136:137], -v[112:113]
	v_add_f64 v[106:107], v[124:125], -v[106:107]
	v_fma_f64 v[112:113], v[132:133], 2.0, -v[96:97]
	v_fma_f64 v[114:115], v[134:135], 2.0, -v[98:99]
	v_add_f64 v[108:109], v[126:127], -v[108:109]
	v_add_f64 v[110:111], v[128:129], -v[110:111]
	v_fma_f64 v[116:117], v[120:121], 2.0, -v[100:101]
	v_fma_f64 v[118:119], v[122:123], 2.0, -v[102:103]
	;; [unrolled: 1-line block ×3, first 2 shown]
	v_add_f64 v[60:61], v[92:93], -v[130:131]
	v_add_f64 v[62:63], v[94:95], -v[138:139]
	v_fma_f64 v[40:41], v[42:43], 2.0, -v[56:57]
	v_fma_f64 v[42:43], v[136:137], 2.0, -v[58:59]
	;; [unrolled: 1-line block ×5, first 2 shown]
	ds_write_b128 v158, v[96:99] offset:192
	ds_write_b128 v158, v[112:115] offset:64
	;; [unrolled: 1-line block ×3, first 2 shown]
	ds_write_b128 v158, v[120:123]
	ds_write_b128 v157, v[124:127]
	ds_write_b128 v157, v[116:119] offset:64
	ds_write_b128 v157, v[108:111] offset:128
	;; [unrolled: 1-line block ×3, first 2 shown]
	s_and_saveexec_b32 s1, vcc_lo
	s_cbranch_execz .LBB0_25
; %bb.24:
	v_fma_f64 v[94:95], v[94:95], 2.0, -v[62:63]
	v_fma_f64 v[92:93], v[92:93], 2.0, -v[60:61]
	v_and_or_b32 v96, 0x3f0, v156, v151
	v_lshlrev_b32_e32 v96, 4, v96
	ds_write_b128 v96, v[40:43] offset:64
	ds_write_b128 v96, v[60:63] offset:128
	ds_write_b128 v96, v[92:95]
	ds_write_b128 v96, v[56:59] offset:192
.LBB0_25:
	s_or_b32 exec_lo, exec_lo, s1
	s_waitcnt lgkmcnt(0)
	s_barrier
	buffer_gl0_inv
	ds_read_b128 v[100:103], v149
	ds_read_b128 v[92:95], v149 offset:768
	ds_read_b128 v[116:119], v149 offset:5632
	;; [unrolled: 1-line block ×8, first 2 shown]
	s_and_saveexec_b32 s1, s0
	s_cbranch_execz .LBB0_27
; %bb.26:
	ds_read_b128 v[40:43], v149 offset:2304
	ds_read_b128 v[60:63], v149 offset:5120
	;; [unrolled: 1-line block ×3, first 2 shown]
.LBB0_27:
	s_or_b32 exec_lo, exec_lo, s1
	s_waitcnt lgkmcnt(4)
	v_mul_f64 v[128:129], v[38:39], v[126:127]
	v_mul_f64 v[130:131], v[34:35], v[118:119]
	;; [unrolled: 1-line block ×4, first 2 shown]
	s_waitcnt lgkmcnt(2)
	v_mul_f64 v[136:137], v[38:39], v[122:123]
	v_mul_f64 v[138:139], v[34:35], v[106:107]
	;; [unrolled: 1-line block ×4, first 2 shown]
	s_waitcnt lgkmcnt(1)
	v_mul_f64 v[157:158], v[38:39], v[110:111]
	s_waitcnt lgkmcnt(0)
	v_mul_f64 v[163:164], v[34:35], v[114:115]
	v_mul_f64 v[165:166], v[38:39], v[108:109]
	;; [unrolled: 1-line block ×3, first 2 shown]
	s_mov_b32 s2, 0xe8584caa
	s_mov_b32 s3, 0xbfebb67a
	;; [unrolled: 1-line block ×4, first 2 shown]
	s_barrier
	buffer_gl0_inv
	v_fma_f64 v[124:125], v[36:37], v[124:125], v[128:129]
	v_fma_f64 v[116:117], v[32:33], v[116:117], v[130:131]
	v_fma_f64 v[126:127], v[36:37], v[126:127], -v[132:133]
	v_fma_f64 v[118:119], v[32:33], v[118:119], -v[134:135]
	v_fma_f64 v[120:121], v[36:37], v[120:121], v[136:137]
	v_fma_f64 v[104:105], v[32:33], v[104:105], v[138:139]
	v_fma_f64 v[122:123], v[36:37], v[122:123], -v[153:154]
	v_fma_f64 v[106:107], v[32:33], v[106:107], -v[155:156]
	;; [unrolled: 4-line block ×3, first 2 shown]
	v_add_f64 v[153:154], v[100:101], v[124:125]
	v_add_f64 v[128:129], v[124:125], v[116:117]
	v_add_f64 v[124:125], v[124:125], -v[116:117]
	v_add_f64 v[130:131], v[126:127], v[118:119]
	v_add_f64 v[155:156], v[126:127], -v[118:119]
	v_add_f64 v[132:133], v[120:121], v[104:105]
	v_add_f64 v[126:127], v[102:103], v[126:127]
	;; [unrolled: 1-line block ×9, first 2 shown]
	v_add_f64 v[122:123], v[122:123], -v[106:107]
	v_add_f64 v[120:121], v[120:121], -v[104:105]
	;; [unrolled: 1-line block ×4, first 2 shown]
	v_fma_f64 v[128:129], v[128:129], -0.5, v[100:101]
	v_fma_f64 v[130:131], v[130:131], -0.5, v[102:103]
	;; [unrolled: 1-line block ×3, first 2 shown]
	v_add_f64 v[92:93], v[153:154], v[116:117]
	v_fma_f64 v[134:135], v[134:135], -0.5, v[94:95]
	v_add_f64 v[94:95], v[126:127], v[118:119]
	v_fma_f64 v[136:137], v[136:137], -0.5, v[96:97]
	;; [unrolled: 2-line block ×3, first 2 shown]
	v_add_f64 v[98:99], v[163:164], v[106:107]
	v_add_f64 v[100:101], v[165:166], v[112:113]
	;; [unrolled: 1-line block ×3, first 2 shown]
	v_fma_f64 v[104:105], v[155:156], s[2:3], v[128:129]
	v_fma_f64 v[108:109], v[155:156], s[4:5], v[128:129]
	;; [unrolled: 1-line block ×12, first 2 shown]
	ds_write_b128 v162, v[92:95]
	ds_write_b128 v162, v[104:107] offset:256
	ds_write_b128 v162, v[108:111] offset:512
	ds_write_b128 v161, v[96:99]
	ds_write_b128 v161, v[112:115] offset:256
	ds_write_b128 v161, v[116:119] offset:512
	;; [unrolled: 3-line block ×3, first 2 shown]
	s_and_saveexec_b32 s1, s0
	s_cbranch_execz .LBB0_29
; %bb.28:
	v_mul_f64 v[92:93], v[38:39], v[60:61]
	v_mul_f64 v[94:95], v[34:35], v[56:57]
	;; [unrolled: 1-line block ×4, first 2 shown]
	v_fma_f64 v[62:63], v[36:37], v[62:63], -v[92:93]
	v_fma_f64 v[58:59], v[32:33], v[58:59], -v[94:95]
	v_fma_f64 v[36:37], v[36:37], v[60:61], v[38:39]
	v_fma_f64 v[32:33], v[32:33], v[56:57], v[34:35]
	v_add_f64 v[60:61], v[62:63], v[42:43]
	v_add_f64 v[34:35], v[58:59], v[62:63]
	v_add_f64 v[62:63], v[62:63], -v[58:59]
	v_add_f64 v[38:39], v[32:33], v[36:37]
	v_add_f64 v[56:57], v[36:37], -v[32:33]
	v_add_f64 v[36:37], v[40:41], v[36:37]
	v_fma_f64 v[42:43], v[34:35], -0.5, v[42:43]
	v_add_f64 v[34:35], v[58:59], v[60:61]
	v_fma_f64 v[92:93], v[38:39], -0.5, v[40:41]
	v_add_f64 v[32:33], v[32:33], v[36:37]
	v_fma_f64 v[38:39], v[56:57], s[2:3], v[42:43]
	v_fma_f64 v[42:43], v[56:57], s[4:5], v[42:43]
	v_fma_f64 v[40:41], v[62:63], s[2:3], v[92:93]
	v_fma_f64 v[36:37], v[62:63], s[4:5], v[92:93]
	v_mul_u32_u24_e32 v56, 48, v159
	v_or_b32_e32 v56, v56, v152
	v_lshlrev_b32_e32 v56, 4, v56
	ds_write_b128 v56, v[32:35]
	ds_write_b128 v56, v[40:43] offset:256
	ds_write_b128 v56, v[36:39] offset:512
.LBB0_29:
	s_or_b32 exec_lo, exec_lo, s1
	s_waitcnt lgkmcnt(0)
	s_barrier
	buffer_gl0_inv
	ds_read_b128 v[36:39], v149 offset:768
	ds_read_b128 v[32:35], v149
	ds_read_b128 v[40:43], v149 offset:1536
	ds_read_b128 v[56:59], v149 offset:2304
	;; [unrolled: 1-line block ×9, first 2 shown]
	s_mov_b32 s2, 0xf8bb580b
	s_mov_b32 s4, 0x8764f0ba
	;; [unrolled: 1-line block ×9, first 2 shown]
	s_waitcnt lgkmcnt(10)
	v_mul_f64 v[116:117], v[78:79], v[38:39]
	v_mul_f64 v[78:79], v[78:79], v[36:37]
	s_waitcnt lgkmcnt(8)
	v_mul_f64 v[120:121], v[54:55], v[42:43]
	v_mul_f64 v[54:55], v[54:55], v[40:41]
	;; [unrolled: 3-line block ×3, first 2 shown]
	s_mov_b32 s16, 0xd9c712b6
	s_waitcnt lgkmcnt(3)
	v_mul_f64 v[126:127], v[70:71], v[102:103]
	s_waitcnt lgkmcnt(2)
	v_mul_f64 v[122:123], v[74:75], v[106:107]
	v_mul_f64 v[74:75], v[74:75], v[104:105]
	s_waitcnt lgkmcnt(0)
	v_mul_f64 v[118:119], v[86:87], v[112:113]
	v_mul_f64 v[70:71], v[70:71], v[100:101]
	s_mov_b32 s22, 0xbb3a28a1
	s_mov_b32 s26, 0x7f775887
	;; [unrolled: 1-line block ×10, first 2 shown]
	v_fma_f64 v[116:117], v[76:77], v[36:37], v[116:117]
	v_fma_f64 v[76:77], v[76:77], v[38:39], -v[78:79]
	v_mul_f64 v[38:39], v[86:87], v[114:115]
	v_mul_f64 v[78:79], v[90:91], v[110:111]
	;; [unrolled: 1-line block ×5, first 2 shown]
	v_fma_f64 v[40:41], v[52:53], v[40:41], v[120:121]
	v_fma_f64 v[42:43], v[52:53], v[42:43], -v[54:55]
	v_fma_f64 v[60:61], v[44:45], v[60:61], v[124:125]
	v_fma_f64 v[36:37], v[84:85], v[114:115], -v[118:119]
	v_mul_f64 v[114:115], v[82:83], v[94:95]
	v_mul_f64 v[82:83], v[82:83], v[92:93]
	;; [unrolled: 1-line block ×4, first 2 shown]
	v_fma_f64 v[44:45], v[44:45], v[62:63], -v[46:47]
	v_fma_f64 v[62:63], v[68:69], v[102:103], -v[70:71]
	v_fma_f64 v[46:47], v[68:69], v[100:101], v[126:127]
	s_mov_b32 s35, 0xbfeeb42a
	s_mov_b32 s0, s2
	;; [unrolled: 1-line block ×4, first 2 shown]
	v_add_f64 v[52:53], v[32:33], v[116:117]
	v_add_f64 v[54:55], v[34:35], v[76:77]
	v_fma_f64 v[38:39], v[84:85], v[112:113], v[38:39]
	v_fma_f64 v[78:79], v[88:89], v[108:109], v[78:79]
	v_fma_f64 v[84:85], v[88:89], v[110:111], -v[86:87]
	v_fma_f64 v[56:57], v[48:49], v[56:57], v[90:91]
	v_fma_f64 v[48:49], v[48:49], v[58:59], -v[50:51]
	v_fma_f64 v[58:59], v[72:73], v[106:107], -v[74:75]
	v_fma_f64 v[50:51], v[72:73], v[104:105], v[122:123]
	s_mov_b32 s24, s18
	v_add_f64 v[68:69], v[76:77], -v[36:37]
	v_add_f64 v[70:71], v[76:77], v[36:37]
	v_fma_f64 v[74:75], v[80:81], v[94:95], -v[82:83]
	v_fma_f64 v[72:73], v[80:81], v[92:93], v[114:115]
	v_fma_f64 v[76:77], v[64:65], v[96:97], v[118:119]
	v_fma_f64 v[64:65], v[64:65], v[98:99], -v[66:67]
	v_add_f64 v[98:99], v[44:45], v[62:63]
	v_add_f64 v[100:101], v[44:45], -v[62:63]
	s_mov_b32 s36, s28
	s_mov_b32 s31, 0x3fe82f19
	;; [unrolled: 1-line block ×4, first 2 shown]
	v_add_f64 v[52:53], v[52:53], v[40:41]
	v_add_f64 v[54:55], v[54:55], v[42:43]
	;; [unrolled: 1-line block ×3, first 2 shown]
	v_add_f64 v[80:81], v[116:117], -v[38:39]
	v_add_f64 v[86:87], v[42:43], -v[84:85]
	v_add_f64 v[42:43], v[42:43], v[84:85]
	v_add_f64 v[82:83], v[40:41], v[78:79]
	;; [unrolled: 1-line block ×3, first 2 shown]
	v_add_f64 v[94:95], v[48:49], -v[58:59]
	v_add_f64 v[88:89], v[56:57], v[50:51]
	v_mul_f64 v[102:103], v[68:69], s[2:3]
	v_mul_f64 v[104:105], v[70:71], s[4:5]
	v_add_f64 v[92:93], v[56:57], -v[50:51]
	v_add_f64 v[40:41], v[40:41], -v[78:79]
	v_mul_f64 v[106:107], v[68:69], s[12:13]
	v_mul_f64 v[108:109], v[70:71], s[16:17]
	;; [unrolled: 1-line block ×4, first 2 shown]
	v_add_f64 v[96:97], v[60:61], v[46:47]
	v_add_f64 v[52:53], v[52:53], v[56:57]
	v_add_f64 v[48:49], v[54:55], v[48:49]
	v_mul_f64 v[54:55], v[68:69], s[18:19]
	v_mul_f64 v[56:57], v[70:71], s[20:21]
	;; [unrolled: 1-line block ×8, first 2 shown]
	v_fma_f64 v[155:156], v[66:67], s[4:5], v[102:103]
	v_fma_f64 v[157:158], v[80:81], s[0:1], v[104:105]
	v_mul_f64 v[118:119], v[86:87], s[22:23]
	v_mul_f64 v[120:121], v[42:43], s[26:27]
	;; [unrolled: 1-line block ×8, first 2 shown]
	v_fma_f64 v[102:103], v[66:67], s[4:5], -v[102:103]
	v_fma_f64 v[104:105], v[80:81], s[2:3], v[104:105]
	v_add_f64 v[52:53], v[52:53], v[60:61]
	v_add_f64 v[44:45], v[48:49], v[44:45]
	v_fma_f64 v[163:164], v[66:67], s[20:21], v[54:55]
	v_fma_f64 v[165:166], v[80:81], s[24:25], v[56:57]
	v_fma_f64 v[54:55], v[66:67], s[20:21], -v[54:55]
	v_fma_f64 v[56:57], v[80:81], s[18:19], v[56:57]
	v_fma_f64 v[159:160], v[66:67], s[16:17], v[106:107]
	v_fma_f64 v[161:162], v[80:81], s[14:15], v[108:109]
	v_fma_f64 v[106:107], v[66:67], s[16:17], -v[106:107]
	v_fma_f64 v[108:109], v[80:81], s[12:13], v[108:109]
	;; [unrolled: 4-line block ×4, first 2 shown]
	v_fma_f64 v[70:71], v[82:83], s[16:17], v[114:115]
	v_fma_f64 v[80:81], v[40:41], s[14:15], v[116:117]
	v_add_f64 v[155:156], v[32:33], v[155:156]
	v_add_f64 v[157:158], v[34:35], v[157:158]
	;; [unrolled: 1-line block ×4, first 2 shown]
	v_mul_f64 v[48:49], v[94:95], s[14:15]
	v_mul_f64 v[138:139], v[90:91], s[16:17]
	v_fma_f64 v[179:180], v[82:83], s[34:35], v[122:123]
	v_fma_f64 v[181:182], v[40:41], s[28:29], v[124:125]
	v_fma_f64 v[122:123], v[82:83], s[34:35], -v[122:123]
	v_fma_f64 v[124:125], v[40:41], s[36:37], v[124:125]
	v_add_f64 v[54:55], v[32:33], v[54:55]
	v_add_f64 v[56:57], v[34:35], v[56:57]
	v_mul_f64 v[151:152], v[94:95], s[2:3]
	v_fma_f64 v[114:115], v[82:83], s[16:17], -v[114:115]
	v_fma_f64 v[116:117], v[40:41], s[12:13], v[116:117]
	v_fma_f64 v[175:176], v[82:83], s[26:27], v[118:119]
	;; [unrolled: 1-line block ×3, first 2 shown]
	v_fma_f64 v[118:119], v[82:83], s[26:27], -v[118:119]
	v_fma_f64 v[120:121], v[40:41], s[22:23], v[120:121]
	v_fma_f64 v[183:184], v[82:83], s[20:21], v[126:127]
	;; [unrolled: 1-line block ×3, first 2 shown]
	v_fma_f64 v[126:127], v[82:83], s[20:21], -v[126:127]
	v_fma_f64 v[128:129], v[40:41], s[24:25], v[128:129]
	v_fma_f64 v[187:188], v[82:83], s[4:5], v[86:87]
	v_add_f64 v[52:53], v[52:53], v[76:77]
	v_add_f64 v[44:45], v[44:45], v[64:65]
	v_fma_f64 v[189:190], v[40:41], s[2:3], v[42:43]
	v_fma_f64 v[82:83], v[82:83], s[4:5], -v[86:87]
	v_fma_f64 v[40:41], v[40:41], s[0:1], v[42:43]
	v_fma_f64 v[42:43], v[88:89], s[20:21], v[130:131]
	;; [unrolled: 1-line block ×3, first 2 shown]
	v_add_f64 v[106:107], v[32:33], v[106:107]
	v_add_f64 v[108:109], v[34:35], v[108:109]
	v_add_f64 v[110:111], v[32:33], v[110:111]
	v_add_f64 v[112:113], v[34:35], v[112:113]
	v_mul_f64 v[134:135], v[94:95], s[36:37]
	v_mul_f64 v[136:137], v[90:91], s[34:35]
	;; [unrolled: 1-line block ×4, first 2 shown]
	v_fma_f64 v[195:196], v[88:89], s[16:17], v[48:49]
	v_fma_f64 v[197:198], v[92:93], s[12:13], v[138:139]
	v_fma_f64 v[48:49], v[88:89], s[16:17], -v[48:49]
	v_fma_f64 v[138:139], v[92:93], s[14:15], v[138:139]
	v_add_f64 v[54:55], v[122:123], v[54:55]
	v_add_f64 v[56:57], v[124:125], v[56:57]
	v_mul_f64 v[90:91], v[90:91], s[26:27]
	v_add_f64 v[52:53], v[52:53], v[46:47]
	v_add_f64 v[44:45], v[44:45], v[62:63]
	;; [unrolled: 1-line block ×16, first 2 shown]
	v_fma_f64 v[132:133], v[92:93], s[18:19], v[132:133]
	v_add_f64 v[46:47], v[60:61], -v[46:47]
	v_fma_f64 v[130:131], v[88:89], s[20:21], -v[130:131]
	v_fma_f64 v[191:192], v[88:89], s[34:35], v[134:135]
	v_fma_f64 v[193:194], v[92:93], s[28:29], v[136:137]
	v_fma_f64 v[134:135], v[88:89], s[34:35], -v[134:135]
	v_add_f64 v[50:51], v[52:53], v[50:51]
	v_add_f64 v[44:45], v[44:45], v[58:59]
	;; [unrolled: 1-line block ×10, first 2 shown]
	v_mul_f64 v[60:61], v[100:101], s[22:23]
	v_fma_f64 v[136:137], v[92:93], s[36:37], v[136:137]
	v_add_f64 v[32:33], v[82:83], v[32:33]
	v_add_f64 v[34:35], v[40:41], v[34:35]
	;; [unrolled: 1-line block ×4, first 2 shown]
	v_mul_f64 v[66:67], v[98:99], s[26:27]
	v_fma_f64 v[68:69], v[88:89], s[4:5], v[151:152]
	v_mul_f64 v[82:83], v[100:101], s[24:25]
	v_add_f64 v[110:111], v[126:127], v[110:111]
	v_add_f64 v[112:113], v[128:129], v[112:113]
	v_fma_f64 v[86:87], v[88:89], s[4:5], -v[151:152]
	v_add_f64 v[50:51], v[50:51], v[78:79]
	v_add_f64 v[44:45], v[44:45], v[84:85]
	v_fma_f64 v[78:79], v[92:93], s[0:1], v[153:154]
	v_mul_f64 v[84:85], v[98:99], s[20:21]
	v_fma_f64 v[120:121], v[92:93], s[2:3], v[153:154]
	v_add_f64 v[48:49], v[48:49], v[54:55]
	v_add_f64 v[54:55], v[138:139], v[56:57]
	v_fma_f64 v[56:57], v[88:89], s[26:27], -v[94:95]
	v_add_f64 v[104:105], v[179:180], v[161:162]
	v_fma_f64 v[122:123], v[88:89], s[26:27], v[94:95]
	v_mul_f64 v[94:95], v[100:101], s[2:3]
	v_add_f64 v[106:107], v[181:182], v[163:164]
	v_add_f64 v[58:59], v[132:133], v[58:59]
	v_fma_f64 v[124:125], v[92:93], s[30:31], v[90:91]
	v_fma_f64 v[88:89], v[92:93], s[22:23], v[90:91]
	v_add_f64 v[52:53], v[130:131], v[52:53]
	v_fma_f64 v[92:93], v[46:47], s[30:31], v[66:67]
	v_add_f64 v[68:69], v[68:69], v[108:109]
	v_fma_f64 v[66:67], v[46:47], s[22:23], v[66:67]
	v_mul_f64 v[108:109], v[98:99], s[4:5]
	v_add_f64 v[62:63], v[191:192], v[62:63]
	v_add_f64 v[70:71], v[193:194], v[70:71]
	;; [unrolled: 1-line block ×3, first 2 shown]
	v_fma_f64 v[90:91], v[96:97], s[26:27], v[60:61]
	v_add_f64 v[78:79], v[78:79], v[114:115]
	v_fma_f64 v[60:61], v[96:97], s[26:27], -v[60:61]
	v_fma_f64 v[114:115], v[96:97], s[20:21], v[82:83]
	v_fma_f64 v[126:127], v[46:47], s[18:19], v[84:85]
	v_fma_f64 v[82:83], v[96:97], s[20:21], -v[82:83]
	v_add_f64 v[102:103], v[136:137], v[102:103]
	v_add_f64 v[86:87], v[86:87], v[110:111]
	v_fma_f64 v[84:85], v[46:47], s[24:25], v[84:85]
	v_add_f64 v[110:111], v[120:121], v[112:113]
	v_mul_f64 v[112:113], v[100:101], s[28:29]
	v_mul_f64 v[120:121], v[98:99], s[34:35]
	;; [unrolled: 1-line block ×4, first 2 shown]
	v_add_f64 v[32:33], v[56:57], v[32:33]
	v_add_f64 v[56:57], v[74:75], -v[64:65]
	v_add_f64 v[64:65], v[74:75], v[64:65]
	v_add_f64 v[116:117], v[187:188], v[169:170]
	;; [unrolled: 1-line block ×4, first 2 shown]
	v_fma_f64 v[74:75], v[96:97], s[4:5], v[94:95]
	v_add_f64 v[106:107], v[197:198], v[106:107]
	v_add_f64 v[34:35], v[88:89], v[34:35]
	;; [unrolled: 1-line block ×3, first 2 shown]
	v_fma_f64 v[58:59], v[46:47], s[0:1], v[108:109]
	v_fma_f64 v[66:67], v[96:97], s[4:5], -v[94:95]
	v_add_f64 v[52:53], v[60:61], v[52:53]
	v_add_f64 v[60:61], v[114:115], v[62:63]
	;; [unrolled: 1-line block ×4, first 2 shown]
	v_fma_f64 v[82:83], v[46:47], s[2:3], v[108:109]
	v_add_f64 v[40:41], v[90:91], v[40:41]
	v_add_f64 v[42:43], v[92:93], v[42:43]
	;; [unrolled: 1-line block ×3, first 2 shown]
	v_fma_f64 v[84:85], v[96:97], s[34:35], v[112:113]
	v_fma_f64 v[90:91], v[46:47], s[36:37], v[120:121]
	v_fma_f64 v[92:93], v[96:97], s[34:35], -v[112:113]
	v_fma_f64 v[94:95], v[46:47], s[28:29], v[120:121]
	v_fma_f64 v[102:103], v[96:97], s[16:17], v[100:101]
	;; [unrolled: 1-line block ×3, first 2 shown]
	v_fma_f64 v[96:97], v[96:97], s[16:17], -v[100:101]
	v_fma_f64 v[46:47], v[46:47], s[14:15], v[98:99]
	v_add_f64 v[98:99], v[72:73], v[76:77]
	v_add_f64 v[72:73], v[72:73], -v[76:77]
	v_mul_f64 v[76:77], v[56:57], s[28:29]
	v_mul_f64 v[100:101], v[64:65], s[34:35]
	v_add_f64 v[116:117], v[122:123], v[116:117]
	v_add_f64 v[118:119], v[124:125], v[118:119]
	v_add_f64 v[74:75], v[74:75], v[104:105]
	v_mul_f64 v[104:105], v[56:57], s[0:1]
	v_mul_f64 v[112:113], v[64:65], s[4:5]
	v_add_f64 v[58:59], v[58:59], v[106:107]
	v_mul_f64 v[106:107], v[56:57], s[22:23]
	v_mul_f64 v[114:115], v[64:65], s[26:27]
	v_add_f64 v[66:67], v[66:67], v[48:49]
	;; [unrolled: 3-line block ×4, first 2 shown]
	v_add_f64 v[68:69], v[90:91], v[78:79]
	v_add_f64 v[78:79], v[92:93], v[86:87]
	;; [unrolled: 1-line block ×5, first 2 shown]
	v_fma_f64 v[46:47], v[98:99], s[34:35], v[76:77]
	v_fma_f64 v[96:97], v[72:73], s[36:37], v[100:101]
	v_add_f64 v[86:87], v[102:103], v[116:117]
	v_add_f64 v[90:91], v[108:109], v[118:119]
	v_fma_f64 v[76:77], v[98:99], s[34:35], -v[76:77]
	v_fma_f64 v[102:103], v[98:99], s[4:5], v[104:105]
	v_fma_f64 v[108:109], v[72:73], s[2:3], v[112:113]
	v_fma_f64 v[104:105], v[98:99], s[4:5], -v[104:105]
	v_fma_f64 v[110:111], v[98:99], s[26:27], v[106:107]
	v_fma_f64 v[116:117], v[72:73], s[30:31], v[114:115]
	;; [unrolled: 3-line block ×5, first 2 shown]
	v_fma_f64 v[114:115], v[72:73], s[22:23], v[114:115]
	v_fma_f64 v[112:113], v[72:73], s[0:1], v[112:113]
	;; [unrolled: 1-line block ×3, first 2 shown]
	v_add_f64 v[32:33], v[50:51], v[38:39]
	v_add_f64 v[34:35], v[44:45], v[36:37]
	;; [unrolled: 1-line block ×22, first 2 shown]
	ds_write_b128 v149, v[32:35]
	ds_write_b128 v149, v[36:39] offset:768
	ds_write_b128 v149, v[44:47] offset:1536
	;; [unrolled: 1-line block ×10, first 2 shown]
	s_waitcnt lgkmcnt(0)
	s_barrier
	buffer_gl0_inv
	ds_read_b128 v[32:35], v149
	ds_read_b128 v[36:39], v149 offset:768
	ds_read_b128 v[40:43], v149 offset:2112
	v_mad_u64_u32 v[56:57], null, s8, v150, 0
	v_mad_u64_u32 v[54:55], null, s10, v146, 0
	ds_read_b128 v[44:47], v149 offset:4224
	s_mov_b32 s2, 0xf07c1f08
	s_mov_b32 s3, 0x3f5f07c1
	s_mul_hi_u32 s1, s8, 0x84
	v_mov_b32_e32 v50, v55
	s_waitcnt lgkmcnt(3)
	v_mul_f64 v[48:49], v[2:3], v[34:35]
	v_mul_f64 v[2:3], v[2:3], v[32:33]
	v_fma_f64 v[52:53], v[0:1], v[32:33], v[48:49]
	v_fma_f64 v[58:59], v[0:1], v[34:35], -v[2:3]
	v_mov_b32_e32 v32, v57
	ds_read_b128 v[0:3], v149 offset:2880
	s_waitcnt lgkmcnt(2)
	v_mul_f64 v[60:61], v[22:23], v[42:43]
	v_mad_u64_u32 v[48:49], null, s11, v146, v[50:51]
	v_mad_u64_u32 v[62:63], null, s9, v150, v[32:33]
	ds_read_b128 v[32:35], v149 offset:6336
	v_mul_f64 v[22:23], v[22:23], v[40:41]
	v_mov_b32_e32 v55, v48
	ds_read_b128 v[48:51], v149 offset:4992
	s_waitcnt lgkmcnt(3)
	v_mul_f64 v[63:64], v[18:19], v[46:47]
	v_mov_b32_e32 v57, v62
	v_mul_f64 v[18:19], v[18:19], v[44:45]
	v_lshlrev_b64 v[65:66], 4, v[54:55]
	v_lshlrev_b64 v[67:68], 4, v[56:57]
	v_mul_f64 v[52:53], v[52:53], s[2:3]
	v_mul_f64 v[54:55], v[58:59], s[2:3]
	ds_read_b128 v[56:59], v149 offset:7104
	v_add_co_u32 v62, s0, s6, v65
	v_fma_f64 v[40:41], v[20:21], v[40:41], v[60:61]
	v_add_co_ci_u32_e64 v65, s0, s7, v66, s0
	s_waitcnt lgkmcnt(2)
	v_mul_f64 v[60:61], v[10:11], v[34:35]
	v_mul_f64 v[10:11], v[10:11], v[32:33]
	v_fma_f64 v[20:21], v[20:21], v[42:43], -v[22:23]
	v_add_co_u32 v42, s0, v62, v67
	v_add_co_ci_u32_e64 v43, s0, v65, v68, s0
	v_fma_f64 v[22:23], v[16:17], v[44:45], v[63:64]
	v_mul_f64 v[44:45], v[6:7], v[38:39]
	v_mul_f64 v[62:63], v[14:15], v[0:1]
	s_waitcnt lgkmcnt(1)
	v_mul_f64 v[64:65], v[26:27], v[50:51]
	v_fma_f64 v[16:17], v[16:17], v[46:47], -v[18:19]
	v_mul_f64 v[18:19], v[6:7], v[36:37]
	v_mul_f64 v[46:47], v[14:15], v[2:3]
	;; [unrolled: 1-line block ×3, first 2 shown]
	s_waitcnt lgkmcnt(0)
	v_mul_f64 v[66:67], v[30:31], v[58:59]
	v_mul_f64 v[30:31], v[30:31], v[56:57]
	s_mul_i32 s0, s9, 0x84
	global_store_dwordx4 v[42:43], v[52:55], off
	s_add_i32 s1, s1, s0
	s_mul_i32 s0, s8, 0x84
	v_mul_f64 v[6:7], v[40:41], s[2:3]
	v_fma_f64 v[32:33], v[8:9], v[32:33], v[60:61]
	s_lshl_b64 s[4:5], s[0:1], 4
	v_fma_f64 v[10:11], v[8:9], v[34:35], -v[10:11]
	v_mul_f64 v[8:9], v[20:21], s[2:3]
	v_add_co_u32 v34, s0, v42, s4
	v_add_co_ci_u32_e64 v35, s0, s5, v43, s0
	v_mul_f64 v[14:15], v[22:23], s[2:3]
	v_fma_f64 v[20:21], v[4:5], v[36:37], v[44:45]
	v_fma_f64 v[22:23], v[12:13], v[2:3], -v[62:63]
	v_fma_f64 v[36:37], v[24:25], v[48:49], v[64:65]
	v_fma_f64 v[18:19], v[4:5], v[38:39], -v[18:19]
	;; [unrolled: 2-line block ×4, first 2 shown]
	v_add_co_u32 v30, s0, v34, s4
	v_add_co_ci_u32_e64 v31, s0, s5, v35, s0
	s_mul_i32 s1, s9, 0xfffffea4
	v_mul_f64 v[2:3], v[32:33], s[2:3]
	v_add_co_u32 v32, s0, v30, s4
	v_add_co_ci_u32_e64 v33, s0, s5, v31, s0
	s_mul_hi_u32 s0, s8, 0xfffffea4
	v_mul_f64 v[16:17], v[16:17], s[2:3]
	s_sub_i32 s0, s0, s8
	v_mul_f64 v[4:5], v[10:11], s[2:3]
	s_add_i32 s1, s0, s1
	s_mul_i32 s0, s8, 0xfffffea4
	v_mul_f64 v[10:11], v[20:21], s[2:3]
	s_lshl_b64 s[6:7], s[0:1], 4
	v_mul_f64 v[20:21], v[22:23], s[2:3]
	v_mul_f64 v[22:23], v[36:37], s[2:3]
	v_add_co_u32 v36, s0, v32, s6
	v_mul_f64 v[12:13], v[18:19], s[2:3]
	v_mul_f64 v[18:19], v[0:1], s[2:3]
	v_add_co_ci_u32_e64 v37, s0, s7, v33, s0
	v_mul_f64 v[24:25], v[24:25], s[2:3]
	v_mul_f64 v[26:27], v[26:27], s[2:3]
	;; [unrolled: 1-line block ×3, first 2 shown]
	v_add_co_u32 v38, s0, v36, s4
	v_add_co_ci_u32_e64 v39, s0, s5, v37, s0
	global_store_dwordx4 v[34:35], v[6:9], off
	v_add_co_u32 v6, s0, v38, s4
	v_add_co_ci_u32_e64 v7, s0, s5, v39, s0
	global_store_dwordx4 v[30:31], v[14:17], off
	;; [unrolled: 3-line block ×3, first 2 shown]
	global_store_dwordx4 v[36:37], v[10:13], off
	global_store_dwordx4 v[38:39], v[18:21], off
	;; [unrolled: 1-line block ×4, first 2 shown]
	s_and_b32 exec_lo, exec_lo, vcc_lo
	s_cbranch_execz .LBB0_31
; %bb.30:
	s_clause 0x3
	global_load_dwordx4 v[2:5], v[140:141], off offset:1536
	global_load_dwordx4 v[6:9], v[147:148], off offset:1600
	;; [unrolled: 1-line block ×4, first 2 shown]
	ds_read_b128 v[18:21], v149 offset:1536
	ds_read_b128 v[22:25], v149 offset:3648
	;; [unrolled: 1-line block ×4, first 2 shown]
	v_add_co_u32 v0, vcc_lo, v0, s6
	v_add_co_ci_u32_e32 v1, vcc_lo, s7, v1, vcc_lo
	s_waitcnt vmcnt(3) lgkmcnt(3)
	v_mul_f64 v[34:35], v[20:21], v[4:5]
	v_mul_f64 v[4:5], v[18:19], v[4:5]
	s_waitcnt vmcnt(2) lgkmcnt(2)
	v_mul_f64 v[36:37], v[24:25], v[8:9]
	v_mul_f64 v[8:9], v[22:23], v[8:9]
	;; [unrolled: 3-line block ×4, first 2 shown]
	v_fma_f64 v[18:19], v[18:19], v[2:3], v[34:35]
	v_fma_f64 v[4:5], v[2:3], v[20:21], -v[4:5]
	v_fma_f64 v[20:21], v[22:23], v[6:7], v[36:37]
	v_fma_f64 v[8:9], v[6:7], v[24:25], -v[8:9]
	;; [unrolled: 2-line block ×4, first 2 shown]
	v_mul_f64 v[2:3], v[18:19], s[2:3]
	v_mul_f64 v[4:5], v[4:5], s[2:3]
	;; [unrolled: 1-line block ×8, first 2 shown]
	v_add_co_u32 v18, vcc_lo, v0, s4
	v_add_co_ci_u32_e32 v19, vcc_lo, s5, v1, vcc_lo
	v_add_co_u32 v20, vcc_lo, v18, s4
	v_add_co_ci_u32_e32 v21, vcc_lo, s5, v19, vcc_lo
	;; [unrolled: 2-line block ×3, first 2 shown]
	global_store_dwordx4 v[0:1], v[2:5], off
	global_store_dwordx4 v[18:19], v[6:9], off
	;; [unrolled: 1-line block ×4, first 2 shown]
.LBB0_31:
	s_endpgm
	.section	.rodata,"a",@progbits
	.p2align	6, 0x0
	.amdhsa_kernel bluestein_single_fwd_len528_dim1_dp_op_CI_CI
		.amdhsa_group_segment_fixed_size 8448
		.amdhsa_private_segment_fixed_size 0
		.amdhsa_kernarg_size 104
		.amdhsa_user_sgpr_count 6
		.amdhsa_user_sgpr_private_segment_buffer 1
		.amdhsa_user_sgpr_dispatch_ptr 0
		.amdhsa_user_sgpr_queue_ptr 0
		.amdhsa_user_sgpr_kernarg_segment_ptr 1
		.amdhsa_user_sgpr_dispatch_id 0
		.amdhsa_user_sgpr_flat_scratch_init 0
		.amdhsa_user_sgpr_private_segment_size 0
		.amdhsa_wavefront_size32 1
		.amdhsa_uses_dynamic_stack 0
		.amdhsa_system_sgpr_private_segment_wavefront_offset 0
		.amdhsa_system_sgpr_workgroup_id_x 1
		.amdhsa_system_sgpr_workgroup_id_y 0
		.amdhsa_system_sgpr_workgroup_id_z 0
		.amdhsa_system_sgpr_workgroup_info 0
		.amdhsa_system_vgpr_workitem_id 0
		.amdhsa_next_free_vgpr 203
		.amdhsa_next_free_sgpr 38
		.amdhsa_reserve_vcc 1
		.amdhsa_reserve_flat_scratch 0
		.amdhsa_float_round_mode_32 0
		.amdhsa_float_round_mode_16_64 0
		.amdhsa_float_denorm_mode_32 3
		.amdhsa_float_denorm_mode_16_64 3
		.amdhsa_dx10_clamp 1
		.amdhsa_ieee_mode 1
		.amdhsa_fp16_overflow 0
		.amdhsa_workgroup_processor_mode 1
		.amdhsa_memory_ordered 1
		.amdhsa_forward_progress 0
		.amdhsa_shared_vgpr_count 0
		.amdhsa_exception_fp_ieee_invalid_op 0
		.amdhsa_exception_fp_denorm_src 0
		.amdhsa_exception_fp_ieee_div_zero 0
		.amdhsa_exception_fp_ieee_overflow 0
		.amdhsa_exception_fp_ieee_underflow 0
		.amdhsa_exception_fp_ieee_inexact 0
		.amdhsa_exception_int_div_zero 0
	.end_amdhsa_kernel
	.text
.Lfunc_end0:
	.size	bluestein_single_fwd_len528_dim1_dp_op_CI_CI, .Lfunc_end0-bluestein_single_fwd_len528_dim1_dp_op_CI_CI
                                        ; -- End function
	.section	.AMDGPU.csdata,"",@progbits
; Kernel info:
; codeLenInByte = 15028
; NumSgprs: 40
; NumVgprs: 203
; ScratchSize: 0
; MemoryBound: 0
; FloatMode: 240
; IeeeMode: 1
; LDSByteSize: 8448 bytes/workgroup (compile time only)
; SGPRBlocks: 4
; VGPRBlocks: 25
; NumSGPRsForWavesPerEU: 40
; NumVGPRsForWavesPerEU: 203
; Occupancy: 4
; WaveLimiterHint : 1
; COMPUTE_PGM_RSRC2:SCRATCH_EN: 0
; COMPUTE_PGM_RSRC2:USER_SGPR: 6
; COMPUTE_PGM_RSRC2:TRAP_HANDLER: 0
; COMPUTE_PGM_RSRC2:TGID_X_EN: 1
; COMPUTE_PGM_RSRC2:TGID_Y_EN: 0
; COMPUTE_PGM_RSRC2:TGID_Z_EN: 0
; COMPUTE_PGM_RSRC2:TIDIG_COMP_CNT: 0
	.text
	.p2alignl 6, 3214868480
	.fill 48, 4, 3214868480
	.type	__hip_cuid_699d3478ca23acb,@object ; @__hip_cuid_699d3478ca23acb
	.section	.bss,"aw",@nobits
	.globl	__hip_cuid_699d3478ca23acb
__hip_cuid_699d3478ca23acb:
	.byte	0                               ; 0x0
	.size	__hip_cuid_699d3478ca23acb, 1

	.ident	"AMD clang version 19.0.0git (https://github.com/RadeonOpenCompute/llvm-project roc-6.4.0 25133 c7fe45cf4b819c5991fe208aaa96edf142730f1d)"
	.section	".note.GNU-stack","",@progbits
	.addrsig
	.addrsig_sym __hip_cuid_699d3478ca23acb
	.amdgpu_metadata
---
amdhsa.kernels:
  - .args:
      - .actual_access:  read_only
        .address_space:  global
        .offset:         0
        .size:           8
        .value_kind:     global_buffer
      - .actual_access:  read_only
        .address_space:  global
        .offset:         8
        .size:           8
        .value_kind:     global_buffer
      - .actual_access:  read_only
        .address_space:  global
        .offset:         16
        .size:           8
        .value_kind:     global_buffer
      - .actual_access:  read_only
        .address_space:  global
        .offset:         24
        .size:           8
        .value_kind:     global_buffer
      - .actual_access:  read_only
        .address_space:  global
        .offset:         32
        .size:           8
        .value_kind:     global_buffer
      - .offset:         40
        .size:           8
        .value_kind:     by_value
      - .address_space:  global
        .offset:         48
        .size:           8
        .value_kind:     global_buffer
      - .address_space:  global
        .offset:         56
        .size:           8
        .value_kind:     global_buffer
      - .address_space:  global
        .offset:         64
        .size:           8
        .value_kind:     global_buffer
      - .address_space:  global
        .offset:         72
        .size:           8
        .value_kind:     global_buffer
      - .offset:         80
        .size:           4
        .value_kind:     by_value
      - .address_space:  global
        .offset:         88
        .size:           8
        .value_kind:     global_buffer
      - .address_space:  global
        .offset:         96
        .size:           8
        .value_kind:     global_buffer
    .group_segment_fixed_size: 8448
    .kernarg_segment_align: 8
    .kernarg_segment_size: 104
    .language:       OpenCL C
    .language_version:
      - 2
      - 0
    .max_flat_workgroup_size: 48
    .name:           bluestein_single_fwd_len528_dim1_dp_op_CI_CI
    .private_segment_fixed_size: 0
    .sgpr_count:     40
    .sgpr_spill_count: 0
    .symbol:         bluestein_single_fwd_len528_dim1_dp_op_CI_CI.kd
    .uniform_work_group_size: 1
    .uses_dynamic_stack: false
    .vgpr_count:     203
    .vgpr_spill_count: 0
    .wavefront_size: 32
    .workgroup_processor_mode: 1
amdhsa.target:   amdgcn-amd-amdhsa--gfx1030
amdhsa.version:
  - 1
  - 2
...

	.end_amdgpu_metadata
